;; amdgpu-corpus repo=ROCm/aiter kind=harvested arch=n/a opt=n/a

/root/src/amdgpu-assembly/repos/ROCm__aiter/hsa/gfx950/fmoe/gelu/fmoe_bf16_blockscaleBf16_g1u1_flat_vs_gelu_1x256.co:	file format elf64-amdgpu

Disassembly of section .text:

0000000000002e00 <_ZN5aiter48fmoe_bf16_blockscaleBf16_g1u1_flat_vs_gelu_1x256E>:
	s_and_b32 s1, s1, 0xffff                                   // 000000002E00: 8601FF01 0000FFFF
	s_load_dwordx2 s[8:9], s[0:1], 0x0                         // 000000002E08: C0060200 00000000
	s_load_dwordx2 s[20:21], s[0:1], 0x10                      // 000000002E10: C0060500 00000010
	s_load_dwordx2 s[24:25], s[0:1], 0x20                      // 000000002E18: C0060600 00000020
	s_load_dwordx2 s[50:51], s[0:1], 0x30                      // 000000002E20: C0060C80 00000030
	s_load_dwordx2 s[12:13], s[0:1], 0x40                      // 000000002E28: C0060300 00000040
	s_load_dwordx2 s[28:29], s[0:1], 0x50                      // 000000002E30: C0060700 00000050
	s_load_dwordx2 s[32:33], s[0:1], 0x60                      // 000000002E38: C0060800 00000060
	s_load_dwordx2 s[16:17], s[0:1], 0x70                      // 000000002E40: C0060400 00000070
	s_load_dwordx2 s[36:37], s[0:1], 0x80                      // 000000002E48: C0060900 00000080
	s_load_dwordx2 s[44:45], s[0:1], 0x90                      // 000000002E50: C0060B00 00000090
	s_load_dwordx2 s[40:41], s[0:1], 0xa0                      // 000000002E58: C0060A00 000000A0
	s_load_dwordx2 s[46:47], s[0:1], 0xb0                      // 000000002E60: C0060B80 000000B0
	s_load_dword s64, s[0:1], 0xc0                             // 000000002E68: C0021000 000000C0
	s_load_dword s65, s[0:1], 0xd0                             // 000000002E70: C0021040 000000D0
	s_load_dword s66, s[0:1], 0xe0                             // 000000002E78: C0021080 000000E0
	s_load_dword s67, s[0:1], 0xf0                             // 000000002E80: C00210C0 000000F0
	s_load_dword s68, s[0:1], 0x100                            // 000000002E88: C0021100 00000100
	s_load_dword s69, s[0:1], 0x110                            // 000000002E90: C0021140 00000110
	s_load_dword s70, s[0:1], 0x120                            // 000000002E98: C0021180 00000120
	s_load_dword s71, s[0:1], 0x130                            // 000000002EA0: C00211C0 00000130
	s_load_dword s72, s[0:1], 0x140                            // 000000002EA8: C0021200 00000140
	s_load_dword s73, s[0:1], 0x150                            // 000000002EB0: C0021240 00000150
	s_load_dword s74, s[0:1], 0x160                            // 000000002EB8: C0021280 00000160
	s_load_dword s75, s[0:1], 0x170                            // 000000002EC0: C00212C0 00000170
	s_load_dword s76, s[0:1], 0x180                            // 000000002EC8: C0021300 00000180
	s_load_dword s89, s[0:1], 0x190                            // 000000002ED0: C0021640 00000190
	v_lshrrev_b32_e32 v1, 10, v0                               // 000000002ED8: 2002008A
	v_lshrrev_b32_e32 v2, 10, v1                               // 000000002EDC: 2004028A
	v_and_b32_e32 v2, 0x3ff, v2                                // 000000002EE0: 260404FF 000003FF
	v_and_b32_e32 v1, 0x3ff, v1                                // 000000002EE8: 260202FF 000003FF
	v_and_b32_e32 v0, 0x3ff, v0                                // 000000002EF0: 260000FF 000003FF
	v_lshrrev_b32_e32 v3, 6, v0                                // 000000002EF8: 20060086
	v_and_b32_e32 v0, 63, v0                                   // 000000002EFC: 260000BF
	s_mov_b32 s96, s2                                          // 000000002F00: BEE00002
	s_mov_b32 s97, s3                                          // 000000002F04: BEE10003
	s_mov_b32 s2, s4                                           // 000000002F08: BE820004
	s_mov_b32 s3, s5                                           // 000000002F0C: BE830005
	s_mov_b32 s4, s6                                           // 000000002F10: BE840006
	s_mov_b32 s2, s2                                           // 000000002F14: BE820002
	s_mov_b32 s3, s3                                           // 000000002F18: BE830003
	s_mov_b32 s4, s4                                           // 000000002F1C: BE840004
	v_readfirstlane_b32 s7, v3                                 // 000000002F20: 7E0E0503
	s_waitcnt lgkmcnt(0)                                       // 000000002F24: BF8CC07F
	s_mul_i32 s86, s4, s89                                     // 000000002F28: 92565904
	s_add_u32 s86, s86, s3                                     // 000000002F2C: 80560356
	s_lshl_b32 s86, s86, 2                                     // 000000002F30: 8E568256
	s_load_dword s5, s[44:45], s86                             // 000000002F34: C0000156 00000056
	s_load_dword s88, s[40:41], s86                            // 000000002F3C: C0001614 00000056
	s_and_b32 s45, s45, 0xffff                                 // 000000002F44: 862DFF2D 0000FFFF
	s_and_b32 s47, s47, 0xffff                                 // 000000002F4C: 862FFF2F 0000FFFF
	s_and_b32 s9, s9, 0xffff                                   // 000000002F54: 8609FF09 0000FFFF
	s_mul_i32 s60, s66, s68                                    // 000000002F5C: 923C4442
	s_mul_i32 s61, s66, 4                                      // 000000002F60: 923D8442
	s_mov_b32 s22, s60                                         // 000000002F64: BE96003C
	s_mov_b32 s26, -16                                         // 000000002F68: BE9A00D0
	s_mov_b32 s14, -16                                         // 000000002F6C: BE8E00D0
	s_mov_b32 s42, -16                                         // 000000002F70: BEAA00D0
	s_mov_b32 s30, -16                                         // 000000002F74: BE9E00D0
	s_mov_b32 s34, -16                                         // 000000002F78: BEA200D0
	s_mov_b32 s38, -16                                         // 000000002F7C: BEA600D0
	s_mov_b32 s18, -16                                         // 000000002F80: BE9200D0
	s_mul_i32 s60, s66, s71                                    // 000000002F84: 923C4742
	s_mov_b32 s10, s60                                         // 000000002F88: BE8A003C
	s_mov_b32 s23, 0x20000                                     // 000000002F8C: BE9700FF 00020000
	s_mov_b32 s27, 0x20000                                     // 000000002F94: BE9B00FF 00020000
	s_mov_b32 s15, 0x20000                                     // 000000002F9C: BE8F00FF 00020000
	s_mov_b32 s43, 0x20000                                     // 000000002FA4: BEAB00FF 00020000
	s_mov_b32 s31, 0x20000                                     // 000000002FAC: BE9F00FF 00020000
	s_mov_b32 s35, 0x20000                                     // 000000002FB4: BEA300FF 00020000
	s_mov_b32 s39, 0x20000                                     // 000000002FBC: BEA700FF 00020000
	s_mov_b32 s19, 0x20000                                     // 000000002FC4: BE9300FF 00020000
	s_mov_b32 s11, 0x20000                                     // 000000002FCC: BE8B00FF 00020000
	s_and_b32 s21, s21, 0xffff                                 // 000000002FD4: 8615FF15 0000FFFF
	s_and_b32 s25, s25, 0xffff                                 // 000000002FDC: 8619FF19 0000FFFF
	s_and_b32 s13, s13, 0xffff                                 // 000000002FE4: 860DFF0D 0000FFFF
	s_and_b32 s41, s41, 0xffff                                 // 000000002FEC: 8629FF29 0000FFFF
	s_and_b32 s29, s29, 0xffff                                 // 000000002FF4: 861DFF1D 0000FFFF
	s_and_b32 s33, s33, 0xffff                                 // 000000002FFC: 8621FF21 0000FFFF
	s_and_b32 s37, s37, 0xffff                                 // 000000003004: 8625FF25 0000FFFF
	s_and_b32 s17, s17, 0xffff                                 // 00000000300C: 8611FF11 0000FFFF
	s_or_b32 s21, s21, 0x40000                                 // 000000003014: 8715FF15 00040000
	s_or_b32 s25, s25, 0x40000                                 // 00000000301C: 8719FF19 00040000
	s_or_b32 s13, s13, 0x40000                                 // 000000003024: 870DFF0D 00040000
	s_or_b32 s41, s41, 0x40000                                 // 00000000302C: 8729FF29 00040000
	s_or_b32 s29, s29, 0x40000                                 // 000000003034: 871DFF1D 00040000
	s_or_b32 s33, s33, 0x40000                                 // 00000000303C: 8721FF21 00040000
	s_or_b32 s37, s37, 0x40000                                 // 000000003044: 8725FF25 00040000
	s_or_b32 s17, s17, 0x40000                                 // 00000000304C: 8711FF11 00040000
	s_mov_b32 s46, -16                                         // 000000003054: BEAE00D0
	s_mov_b32 s47, 0x20000                                     // 000000003058: BEAF00FF 00020000
	s_or_b32 s45, s45, 0x40000                                 // 000000003060: 872DFF2D 00040000
	v_accvgpr_write_b32 a255, 0                                // 000000003068: D3D940FF 18000080
	v_mov_b32_e32 v191, 0                                      // 000000003070: 7F7E0280
	s_mul_i32 s99, s66, s64                                    // 000000003074: 92634042
	s_lshl_b32 s99, s99, 1                                     // 000000003078: 8E638163
	s_cmp_eq_u32 s7, 0                                         // 00000000307C: BF068007
	s_cbranch_scc0 label_00CD                                  // 000000003080: BF84002C
	s_mov_b64 exec, 1                                          // 000000003084: BEFE0181
	v_mov_b32_e32 v192, s99                                    // 000000003088: 7F800263
	global_load_dwordx2 v[200:201], v192, s[8:9] sc0 sc1       // 00000000308C: DE558000 C80800C0
	s_waitcnt vmcnt(0)                                         // 000000003094: BF8C0F70
	v_readfirstlane_b32 s60, v200                              // 000000003098: 7E7805C8
	v_readfirstlane_b32 s61, v201                              // 00000000309C: 7E7A05C9
	s_cmp_eq_u32 s60, s96                                      // 0000000030A0: BF06603C
	s_cbranch_scc0 label_00B2                                  // 0000000030A4: BF840008
	s_mov_b32 s98, 2                                           // 0000000030A8: BEE20082
	s_cmp_eq_u32 s61, 0xdeadc0de                               // 0000000030AC: BF06FF3D DEADC0DE
	s_cbranch_scc1 label_00C6                                  // 0000000030B4: BF850018
	s_mov_b32 s98, 1                                           // 0000000030B8: BEE20081
	s_cmp_eq_u32 s61, 0xdeaddead                               // 0000000030BC: BF06FF3D DEADDEAD
	s_cbranch_scc1 label_00C6                                  // 0000000030C4: BF850014

00000000000030c8 <label_00B2>:
	v_mov_b32_e32 v196, s96                                    // 0000000030C8: 7F880260
	s_mov_b32 s62, 0xdeaddead                                  // 0000000030CC: BEBE00FF DEADDEAD
	v_mov_b32_e32 v197, s62                                    // 0000000030D4: 7F8A023E
	v_mov_b32_e32 v198, v200                                   // 0000000030D8: 7F8C03C8
	v_mov_b32_e32 v199, v201                                   // 0000000030DC: 7F8E03C9
	global_atomic_cmpswap_x2 v[200:201], v192, v[196:199], s[8:9] sc0 sc1// 0000000030E0: DF858000 C808C4C0
	s_waitcnt vmcnt(0)                                         // 0000000030E8: BF8C0F70
	v_readfirstlane_b32 s60, v200                              // 0000000030EC: 7E7805C8
	v_readfirstlane_b32 s61, v198                              // 0000000030F0: 7E7A05C6
	s_cmp_eq_u32 s60, s61                                      // 0000000030F4: BF063D3C
	s_cbranch_scc0 label_00C5                                  // 0000000030F8: BF840006
	v_readfirstlane_b32 s60, v201                              // 0000000030FC: 7E7805C9
	v_readfirstlane_b32 s61, v199                              // 000000003100: 7E7A05C7
	s_cmp_eq_u32 s60, s61                                      // 000000003104: BF063D3C
	s_cbranch_scc0 label_00C5                                  // 000000003108: BF840002
	s_mov_b32 s98, 0                                           // 00000000310C: BEE20080
	s_branch label_00C6                                        // 000000003110: BF820001

0000000000003114 <label_00C5>:
	s_mov_b32 s98, 1                                           // 000000003114: BEE20081

0000000000003118 <label_00C6>:
	v_mov_b32_e32 v192, 0xb690                                 // 000000003118: 7F8002FF 0000B690
	v_mov_b32_e32 v196, s98                                    // 000000003120: 7F880262
	ds_write_b32 v192, v196                                    // 000000003124: D81A0000 0000C4C0
	s_waitcnt lgkmcnt(0)                                       // 00000000312C: BF8CC07F
	s_mov_b64 exec, -1                                         // 000000003130: BEFE01C1

0000000000003134 <label_00CD>:
	s_barrier                                                  // 000000003134: BF8A0000
	v_mov_b32_e32 v192, 0xb690                                 // 000000003138: 7F8002FF 0000B690
	ds_read_b32 v200, v192                                     // 000000003140: D86C0000 C80000C0
	s_waitcnt lgkmcnt(0)                                       // 000000003148: BF8CC07F
	v_readfirstlane_b32 s98, v200                              // 00000000314C: 7EC405C8
	s_cmp_eq_u32 s98, 0                                        // 000000003150: BF068062
	s_cbranch_scc0 label_00ED                                  // 000000003154: BF840017
	s_mov_b32 s56, s8                                          // 000000003158: BEB80008
	s_mov_b32 s57, s9                                          // 00000000315C: BEB90009
	s_mov_b32 s58, s99                                         // 000000003160: BEBA0063
	s_mov_b32 s59, s11                                         // 000000003164: BEBB000B
	s_lshl_b32 s60, s7, 10                                     // 000000003168: 8E3C8A07
	v_lshlrev_b32_e32 v202, 4, v0                              // 00000000316C: 25940084
	v_add_u32_e32 v202, s60, v202                              // 000000003170: 6995943C
	v_mov_b32_e32 v204, 0                                      // 000000003174: 7F980280
	v_mov_b32_e32 v205, 0                                      // 000000003178: 7F9A0280
	v_mov_b32_e32 v206, 0                                      // 00000000317C: 7F9C0280
	v_mov_b32_e32 v207, 0                                      // 000000003180: 7F9E0280
	s_mul_i32 s61, s66, s64                                    // 000000003184: 923D4042
	s_add_u32 s61, s61, 0x7ff                                  // 000000003188: 803DFF3D 000007FF
	s_lshr_b32 s61, s61, 11                                    // 000000003190: 8F3D8B3D
	s_mov_b32 s60, 0                                           // 000000003194: BEBC0080

0000000000003198 <label_00E6>:
	buffer_store_dwordx4 v[204:207], v202, s[56:59], 0 offen sc0 sc1// 000000003198: E07CD000 800ECCCA
	v_add_u32_e32 v202, 0x1000, v202                           // 0000000031A0: 699594FF 00001000
	s_add_u32 s60, s60, 1                                      // 0000000031A8: 803C813C
	s_cmp_lt_u32 s60, s61                                      // 0000000031AC: BF0A3D3C
	s_cbranch_scc1 label_00E6                                  // 0000000031B0: BF85FFF9

00000000000031b4 <label_00ED>:
	s_cmp_eq_u32 s98, 0                                        // 0000000031B4: BF068062
	s_cbranch_scc0 label_00FC                                  // 0000000031B8: BF84000D
	s_waitcnt vmcnt(0)                                         // 0000000031BC: BF8C0F70
	s_cmp_eq_u32 s7, 0                                         // 0000000031C0: BF068007
	s_cbranch_scc0 label_00FB                                  // 0000000031C4: BF840009
	s_mov_b64 exec, 1                                          // 0000000031C8: BEFE0181
	v_mov_b32_e32 v192, s99                                    // 0000000031CC: 7F800263
	v_mov_b32_e32 v196, s96                                    // 0000000031D0: 7F880260
	s_mov_b32 s61, 0xdeadc0de                                  // 0000000031D4: BEBD00FF DEADC0DE
	v_mov_b32_e32 v197, s61                                    // 0000000031DC: 7F8A023D
	global_store_dwordx2 v192, v[196:197], s[8:9] sc0 sc1      // 0000000031E0: DE758000 0008C4C0
	s_mov_b64 exec, -1                                         // 0000000031E8: BEFE01C1

00000000000031ec <label_00FB>:
	s_barrier                                                  // 0000000031EC: BF8A0000

00000000000031f0 <label_00FC>:
	s_mov_b32 s87, s4                                          // 0000000031F0: BED70004
	s_waitcnt lgkmcnt(0)                                       // 0000000031F4: BF8CC07F
	s_mov_b32 s83, -1                                          // 0000000031F8: BED300C1
	s_mov_b32 s84, -1                                          // 0000000031FC: BED400C1
	s_mov_b32 s85, -1                                          // 000000003200: BED500C1
	s_cmp_eq_u32 s7, 0                                         // 000000003204: BF068007
	s_cselect_b32 s82, s87, -1                                 // 000000003208: 8552C157
	v_and_b32_e32 v53, 15, v0                                  // 00000000320C: 266A008F
	v_cmp_eq_u32_e32 vcc, 0, v53                               // 000000003210: 7D946A80
	v_mov_b32_e32 v54, s87                                     // 000000003214: 7E6C0257
	v_mov_b32_e32 v55, -1                                      // 000000003218: 7E6E02C1
	v_cndmask_b32_e32 v7, v55, v54, vcc                        // 00000000321C: 000E6D37
	v_mov_b32_e32 v8, -1                                       // 000000003220: 7E1002C1
	v_mov_b32_e32 v54, s88                                     // 000000003224: 7E6C0258
	v_mov_b32_e32 v55, 0                                       // 000000003228: 7E6E0280
	v_cndmask_b32_e32 v23, v55, v54, vcc                       // 00000000322C: 002E6D37
	s_lshr_b32 s60, s7, 1                                      // 000000003230: 8F3C8107
	s_lshl_b32 s60, s60, 3                                     // 000000003234: 8E3C833C
	s_and_b32 s61, s7, 1                                       // 000000003238: 863D8107
	s_lshl_b32 s61, s61, 1                                     // 00000000323C: 8E3D813D
	s_or_b32 s60, s60, s61                                     // 000000003240: 873C3D3C
	v_lshrrev_b32_e32 v46, 3, v0                               // 000000003244: 205C0083
	v_and_b32_e32 v47, 2, v46                                  // 000000003248: 265E5C82
	v_lshlrev_b32_e32 v47, 1, v47                              // 00000000324C: 245E5E81
	v_and_b32_e32 v48, 1, v46                                  // 000000003250: 26605C81
	v_or_b32_e32 v47, v47, v48                                 // 000000003254: 285E612F
	v_add_u32_e32 v47, s60, v47                                // 000000003258: 685E5E3C
	v_and_b32_e32 v48, 3, v0                                   // 00000000325C: 26600083
	v_lshlrev_b32_e32 v48, 4, v48                              // 000000003260: 24606084
	v_add_u32_e32 v47, v47, v48                                // 000000003264: 685E612F
	v_lshrrev_b32_e32 v46, 5, v0                               // 000000003268: 205C0085
	v_lshlrev_b32_e32 v46, 8, v46                              // 00000000326C: 245C5C88
	v_lshlrev_b32_e32 v47, 2, v47                              // 000000003270: 245E5E82
	v_add_u32_e32 v30, v46, v47                                // 000000003274: 683C5F2E
	s_mov_b32 s80, 0                                           // 000000003278: BED00080
	s_mov_b32 s81, s64                                         // 00000000327C: BED10040
	s_waitcnt lgkmcnt(0)                                       // 000000003280: BF8CC07F
	s_mul_i32 s62, s87, s68                                    // 000000003284: 923E4457
	s_mov_b64 exec, -1                                         // 000000003288: BEFE01C1
	v_mov_b32_e32 v31, 0x7fffffff                              // 00000000328C: 7E3E02FF 7FFFFFFF
	s_cmp_eq_u32 s7, 0                                         // 000000003294: BF068007
	s_cselect_b32 s60, 0xff, 0                                 // 000000003298: 853C80FF 000000FF
	s_cselect_b32 s61, 0xff, 0                                 // 0000000032A0: 853D80FF 000000FF
	s_mov_b64 exec, s[60:61]                                   // 0000000032A8: BEFE013C
	v_mov_b32_e32 v31, s62                                     // 0000000032AC: 7E3E023E
	s_mov_b64 exec, -1                                         // 0000000032B0: BEFE01C1
	v_and_b32_e64 v46, v0, 7                                   // 0000000032B4: D113002E 00010F00
	v_lshlrev_b32_e32 v46, 5, v46                              // 0000000032BC: 245C5C85
	v_add_u32_e32 v31, v31, v46                                // 0000000032C0: 683E5D1F
	s_mov_b32 s62, 0x100                                       // 0000000032C4: BEBE00FF 00000100
	s_mov_b32 s60, 0                                           // 0000000032CC: BEBC0080
	s_mov_b32 s61, -1                                          // 0000000032D0: BEBD00C1
	s_mov_b64 exec, s[60:61]                                   // 0000000032D4: BEFE013C
	v_add_u32_e64 v31, v31, s62                                // 0000000032D8: D134001F 00007D1F
	s_mov_b64 exec, -1                                         // 0000000032E0: BEFE01C1
	v_lshlrev_b32_e32 v46, 2, v0                               // 0000000032E4: 245C0082
	s_mul_i32 s60, s82, s71                                    // 0000000032E8: 923C4752
	v_add_u32_e64 v80, v46, s60                                // 0000000032EC: D1340050 0000792E
	v_mov_b32_e32 v81, 0                                       // 0000000032F4: 7EA20280
	s_mul_i32 s60, s83, s71                                    // 0000000032F8: 923C4753
	v_add_u32_e64 v82, v46, s60                                // 0000000032FC: D1340052 0000792E
	v_mov_b32_e32 v83, 0                                       // 000000003304: 7EA60280
	s_mul_i32 s60, s84, s71                                    // 000000003308: 923C4754
	v_add_u32_e64 v84, v46, s60                                // 00000000330C: D1340054 0000792E
	v_mov_b32_e32 v85, 0                                       // 000000003314: 7EAA0280
	s_mul_i32 s60, s85, s71                                    // 000000003318: 923C4755
	v_add_u32_e64 v86, v46, s60                                // 00000000331C: D1340056 0000792E
	v_mov_b32_e32 v87, 0                                       // 000000003324: 7EAE0280
	s_mul_i32 s60, s7, 0x420                                   // 000000003328: 923CFF07 00000420
	s_add_u32 s50, 0, s60                                      // 000000003330: 80323C80
	s_add_u32 s51, 0x1500, s50                                 // 000000003334: 803332FF 00001500
	v_and_b32_e32 v46, 15, v0                                  // 00000000333C: 265C008F
	v_lshrrev_b32_e32 v47, 3, v46                              // 000000003340: 205E5C83
	v_mul_lo_u32 v47, 2, v47                                   // 000000003344: D285002F 00025E82
	v_and_b32_e32 v46, 3, v0                                   // 00000000334C: 265C0083
	v_lshrrev_b32_e32 v48, 1, v46                              // 000000003350: 20605C81
	v_add_u32_e32 v46, v47, v48                                // 000000003354: 685C612F
	v_mul_i32_i24_e32 v2, 0x420, v46                           // 000000003358: 0C045CFF 00000420
	v_and_b32_e32 v46, 7, v0                                   // 000000003360: 265C0087
	v_lshrrev_b32_e32 v47, 2, v46                              // 000000003364: 205E5C82
	v_mul_i32_i24_e32 v47, 0x100, v47                          // 000000003368: 0C5E5EFF 00000100
	v_and_b32_e32 v46, 1, v0                                   // 000000003370: 265C0081
	v_mul_i32_i24_e32 v48, 0x80, v46                           // 000000003374: 0C605CFF 00000080
	v_add_u32_e32 v2, v47, v2                                  // 00000000337C: 6804052F
	v_add_u32_e32 v2, v48, v2                                  // 000000003380: 68040530
	v_lshrrev_b32_e32 v46, 4, v0                               // 000000003384: 205C0084
	v_mul_lo_u32 v46, 16, v46                                  // 000000003388: D285002E 00025C90
	v_add_u32_e32 v2, v46, v2                                  // 000000003390: 6804052E
	s_mul_i32 s60, s2, 0x100                                   // 000000003394: 923CFF02 00000100
	s_mul_i32 s60, s60, s69                                    // 00000000339C: 923C453C
	s_mul_i32 s61, s5, s72                                     // 0000000033A0: 923D4805
	s_add_u32 s60, s61, s60                                    // 0000000033A4: 803C3C3D
	s_add_u32 s24, s60, s24                                    // 0000000033A8: 8018183C
	s_addc_u32 s25, 0, s25                                     // 0000000033AC: 82191980
	s_mul_i32 s60, s7, 16                                      // 0000000033B0: 923C9007
	s_mul_i32 s60, s60, s69                                    // 0000000033B4: 923C453C
	v_lshlrev_b32_e32 v33, 4, v0                               // 0000000033B8: 24420084
	v_add_u32_e32 v33, s60, v33                                // 0000000033BC: 6842423C
	s_mul_i32 s60, 64, s69                                     // 0000000033C0: 923C45C0
	v_add_u32_e32 v34, s60, v33                                // 0000000033C4: 6844423C
	v_add_u32_e32 v35, s60, v34                                // 0000000033C8: 6846443C
	v_add_u32_e32 v36, s60, v35                                // 0000000033CC: 6848463C
	s_mov_b32 s92, s24                                         // 0000000033D0: BEDC0018
	s_mov_b32 s93, s25                                         // 0000000033D4: BEDD0019
	s_mov_b32 s94, s26                                         // 0000000033D8: BEDE001A
	s_mov_b32 s95, s27                                         // 0000000033DC: BEDF001B
	s_mul_i32 s60, s69, s65                                    // 0000000033E0: 923C4145
	s_add_u32 s92, s60, s92                                    // 0000000033E4: 805C5C3C
	s_addc_u32 s93, 0, s93                                     // 0000000033E8: 825D5D80
	s_mul_i32 s60, s2, 0x1000                                  // 0000000033EC: 923CFF02 00001000
	s_mul_i32 s61, s5, s73                                     // 0000000033F4: 923D4905
	s_add_u32 s60, s61, s60                                    // 0000000033F8: 803C3C3D
	s_add_u32 s12, s60, s12                                    // 0000000033FC: 800C0C3C
	s_addc_u32 s13, 0, s13                                     // 000000003400: 820D0D80
	s_mul_i32 s60, s7, 16                                      // 000000003404: 923C9007
	s_mul_i32 s60, s60, s70                                    // 000000003408: 923C463C
	v_lshlrev_b32_e32 v37, 4, v0                               // 00000000340C: 244A0084
	v_add_u32_e32 v37, s60, v37                                // 000000003410: 684A4A3C
	s_mul_i32 s60, 64, s70                                     // 000000003414: 923C46C0
	v_add_u32_e32 v38, s60, v37                                // 000000003418: 684C4A3C
	v_add_u32_e32 v39, s60, v38                                // 00000000341C: 684E4C3C
	v_add_u32_e32 v40, s60, v39                                // 000000003420: 68504E3C
	s_mul_i32 s60, s70, 0x100                                  // 000000003424: 923CFF46 00000100
	s_mov_b32 s78, 0x800                                       // 00000000342C: BECE00FF 00000800
	s_mul_i32 s61, s78, 1                                      // 000000003434: 923D814E
	s_sub_u32 s56, s60, s61                                    // 000000003438: 80B83D3C
	s_lshr_b32 s60, s64, 7                                     // 00000000343C: 8F3C8740
	s_mul_i32 s61, s60, 4                                      // 000000003440: 923D843C
	v_and_b32_e64 v11, v0, 1                                   // 000000003444: D113000B 00010300
	v_mul_lo_u32 v11, v11, s61                                 // 00000000344C: D285000B 00007B0B
	v_and_b32_e64 v46, v0, 3                                   // 000000003454: D113002E 00010700
	v_lshrrev_b32_e32 v46, 1, v46                              // 00000000345C: 205C5C81
	v_mul_lo_u32 v46, 4, v46                                   // 000000003460: D285002E 00025C84
	v_add_u32_e32 v11, v11, v46                                // 000000003468: 68165D0B
	s_lshr_b32 s60, s65, 7                                     // 00000000346C: 8F3C8741
	s_mul_i32 s60, s60, s61                                    // 000000003470: 923C3D3C
	v_add_u32_e64 v13, v11, s60                                // 000000003474: D134000D 0000790B
	s_mov_b32 s4, 8                                            // 00000000347C: BE840088
	s_mul_i32 s60, s2, 2                                       // 000000003480: 923C8202
	s_mul_i32 s60, s60, s61                                    // 000000003484: 923C3D3C
	s_mul_i32 s61, s5, s74                                     // 000000003488: 923D4A05
	s_add_u32 s61, s61, s60                                    // 00000000348C: 803D3C3D
	s_add_u32 s32, s61, s32                                    // 000000003490: 8020203D
	s_addc_u32 s33, 0, s33                                     // 000000003494: 82212180
	s_lshr_b32 s60, s65, 7                                     // 000000003498: 8F3C8741
	s_mul_i32 s61, s60, 4                                      // 00000000349C: 923D843C
	s_mul_i32 s60, s2, 2                                       // 0000000034A0: 923C8202
	s_mul_i32 s60, s60, 4                                      // 0000000034A4: 923C843C
	v_and_b32_e64 v6, v0, 1                                    // 0000000034A8: D1130006 00010300
	v_mul_lo_u32 v6, v6, s61                                   // 0000000034B0: D2850006 00007B06
	v_and_b32_e64 v46, v0, 3                                   // 0000000034B8: D113002E 00010700
	v_lshrrev_b32_e32 v46, 1, v46                              // 0000000034C0: 205C5C81
	v_mul_lo_u32 v46, 4, v46                                   // 0000000034C4: D285002E 00025C84
	v_add_i32 v6, v6, v46                                      // 0000000034CC: D29C0006 00025D06
	v_add_i32 v6, v6, s60                                      // 0000000034D4: D29C0006 00007906
	s_mul_i32 s60, s5, s75                                     // 0000000034DC: 923C4B05
	s_add_u32 s16, s60, s16                                    // 0000000034E0: 8010103C
	s_addc_u32 s17, 0, s17                                     // 0000000034E4: 82111180
	s_mov_b32 s57, 0x200                                       // 0000000034E8: BEB900FF 00000200
	s_mov_b32 s58, 0x1000                                      // 0000000034F0: BEBA00FF 00001000
	s_mul_i32 s79, 2, s61                                      // 0000000034F8: 924F3D82
	s_mov_b32 s59, 0                                           // 0000000034FC: BEBB0080
	s_mov_b32 s90, s58                                         // 000000003500: BEDA003A
	s_mov_b32 s53, 0x7060302                                   // 000000003504: BEB500FF 07060302
	s_mov_b32 s54, 0x400                                       // 00000000350C: BEB600FF 00000400
	s_mov_b32 s55, 0x40100                                     // 000000003514: BEB700FF 00040100
	s_mov_b32 s63, 0x4020100                                   // 00000000351C: BEBF00FF 04020100
	s_mov_b32 s6, 0x3fb8aa3b                                   // 000000003524: BE8600FF 3FB8AA3B
	s_mov_b32 s77, 0xbd92220c                                  // 00000000352C: BECD00FF BD92220C
	s_mov_b32 m0, s50                                          // 000000003534: BEFC0032
	v_mov_b32_e32 v1, 0xbfcc4231                               // 000000003538: 7E0202FF BFCC4231
	v_mov_b32_e32 v42, 0xffff0000                              // 000000003540: 7E5402FF FFFF0000
	v_mov_b32_e32 v43, 0x7fff0000                              // 000000003548: 7E5602FF 7FFF0000
	v_mov_b32_e32 v44, 0x7fff                                  // 000000003550: 7E5802FF 00007FFF
	s_waitcnt vmcnt(0) expcnt(0) lgkmcnt(0)                    // 000000003558: BF8C0000
	v_and_b32_e32 v7, 0xffffff, v7                             // 00000000355C: 260E0EFF 00FFFFFF
	v_and_b32_e32 v8, 0xffffff, v8                             // 000000003564: 261010FF 00FFFFFF
	v_lshlrev_b32_e32 v7, 2, v7                                // 00000000356C: 240E0E82
	v_lshlrev_b32_e32 v8, 2, v8                                // 000000003570: 24101082
	v_lshlrev_b32_e32 v3, 2, v0                                // 000000003574: 24060082
	buffer_load_dwordx4 v[160:163], v31, s[20:23], 0 offen     // 000000003578: E05C1000 8005A01F
	buffer_load_dwordx4 v[164:167], v31, s[20:23], 0 offen offset:16// 000000003580: E05C1010 8005A41F
	s_add_u32 s20, s57, s20                                    // 000000003588: 80141439
	s_addc_u32 s21, 0, s21                                     // 00000000358C: 82151580
	buffer_load_dword v19, v11, s[32:35], 0 offen              // 000000003590: E0501000 8008130B
	buffer_load_dword v21, v13, s[32:35], 0 offen              // 000000003598: E0501000 8008150D
	s_add_u32 s60, 0x100, s80                                  // 0000000035A0: 803C50FF 00000100
	s_cmp_lt_u32 s60, s81                                      // 0000000035A8: BF0A513C
	s_cselect_b32 s4, s4, 0                                    // 0000000035AC: 85048004
	s_add_u32 s32, s4, s32                                     // 0000000035B0: 80202004
	s_addc_u32 s33, 0, s33                                     // 0000000035B4: 82212180
	buffer_load_dwordx4 a[0:3], v33, s[24:27], 0 offen         // 0000000035B8: E05C1000 80860021
	buffer_load_dwordx4 a[4:7], v33, s[24:27], 0 offen offset:1024// 0000000035C0: E05C1400 80860421
	buffer_load_dwordx4 a[8:11], v34, s[24:27], 0 offen        // 0000000035C8: E05C1000 80860822
	buffer_load_dwordx4 a[12:15], v34, s[24:27], 0 offen offset:1024// 0000000035D0: E05C1400 80860C22
	buffer_load_dwordx4 a[16:19], v35, s[24:27], 0 offen       // 0000000035D8: E05C1000 80861023
	buffer_load_dwordx4 a[20:23], v35, s[24:27], 0 offen offset:1024// 0000000035E0: E05C1400 80861423
	buffer_load_dwordx4 a[24:27], v36, s[24:27], 0 offen       // 0000000035E8: E05C1000 80861824
	buffer_load_dwordx4 a[28:31], v36, s[24:27], 0 offen offset:1024// 0000000035F0: E05C1400 80861C24
	buffer_load_dwordx4 a[32:35], v33, s[24:27], 0 offen offset:2048// 0000000035F8: E05C1800 80862021
	buffer_load_dwordx4 a[36:39], v33, s[24:27], 0 offen offset:3072// 000000003600: E05C1C00 80862421
	buffer_load_dwordx4 a[40:43], v34, s[24:27], 0 offen offset:2048// 000000003608: E05C1800 80862822
	buffer_load_dwordx4 a[44:47], v34, s[24:27], 0 offen offset:3072// 000000003610: E05C1C00 80862C22
	buffer_load_dwordx4 a[48:51], v35, s[24:27], 0 offen offset:2048// 000000003618: E05C1800 80863023
	buffer_load_dwordx4 a[52:55], v35, s[24:27], 0 offen offset:3072// 000000003620: E05C1C00 80863423
	buffer_load_dwordx4 a[56:59], v36, s[24:27], 0 offen offset:2048// 000000003628: E05C1800 80863824
	buffer_load_dwordx4 a[60:63], v36, s[24:27], 0 offen offset:3072// 000000003630: E05C1C00 80863C24
	buffer_load_dwordx4 a[64:67], v33, s[92:95], 0 offen       // 000000003638: E05C1000 80974021
	buffer_load_dwordx4 a[68:71], v33, s[92:95], 0 offen offset:1024// 000000003640: E05C1400 80974421
	buffer_load_dwordx4 a[72:75], v34, s[92:95], 0 offen       // 000000003648: E05C1000 80974822
	buffer_load_dwordx4 a[76:79], v34, s[92:95], 0 offen offset:1024// 000000003650: E05C1400 80974C22
	buffer_load_dwordx4 a[80:83], v35, s[92:95], 0 offen       // 000000003658: E05C1000 80975023
	buffer_load_dwordx4 a[84:87], v35, s[92:95], 0 offen offset:1024// 000000003660: E05C1400 80975423
	buffer_load_dwordx4 a[88:91], v36, s[92:95], 0 offen       // 000000003668: E05C1000 80975824
	buffer_load_dwordx4 a[92:95], v36, s[92:95], 0 offen offset:1024// 000000003670: E05C1400 80975C24
	buffer_load_dwordx4 a[96:99], v33, s[92:95], 0 offen offset:2048// 000000003678: E05C1800 80976021
	buffer_load_dwordx4 a[100:103], v33, s[92:95], 0 offen offset:3072// 000000003680: E05C1C00 80976421
	buffer_load_dwordx4 a[104:107], v34, s[92:95], 0 offen offset:2048// 000000003688: E05C1800 80976822
	buffer_load_dwordx4 a[108:111], v34, s[92:95], 0 offen offset:3072// 000000003690: E05C1C00 80976C22
	buffer_load_dwordx4 a[112:115], v35, s[92:95], 0 offen offset:2048// 000000003698: E05C1800 80977023
	buffer_load_dwordx4 a[116:119], v35, s[92:95], 0 offen offset:3072// 0000000036A0: E05C1C00 80977423
	buffer_load_dwordx4 a[120:123], v36, s[92:95], 0 offen offset:2048// 0000000036A8: E05C1800 80977824
	buffer_load_dwordx4 a[124:127], v36, s[92:95], 0 offen offset:3072// 0000000036B0: E05C1C00 80977C24
	s_add_u32 s24, s58, s24                                    // 0000000036B8: 8018183A
	s_addc_u32 s25, 0, s25                                     // 0000000036BC: 82191980
	s_add_u32 s92, s90, s92                                    // 0000000036C0: 805C5C5A
	s_addc_u32 s93, 0, s93                                     // 0000000036C4: 825D5D80
	v_mov_b32_e32 v128, 0                                      // 0000000036C8: 7F000280
	v_mov_b32_e32 v64, 0                                       // 0000000036CC: 7E800280
	v_mov_b32_e32 v129, 0                                      // 0000000036D0: 7F020280
	v_mov_b32_e32 v65, 0                                       // 0000000036D4: 7E820280
	v_mov_b32_e32 v130, 0                                      // 0000000036D8: 7F040280
	v_mov_b32_e32 v66, 0                                       // 0000000036DC: 7E840280
	v_mov_b32_e32 v131, 0                                      // 0000000036E0: 7F060280
	v_mov_b32_e32 v67, 0                                       // 0000000036E4: 7E860280
	v_mov_b32_e32 v132, 0                                      // 0000000036E8: 7F080280
	v_mov_b32_e32 v68, 0                                       // 0000000036EC: 7E880280
	v_mov_b32_e32 v133, 0                                      // 0000000036F0: 7F0A0280
	v_mov_b32_e32 v69, 0                                       // 0000000036F4: 7E8A0280
	v_mov_b32_e32 v134, 0                                      // 0000000036F8: 7F0C0280
	v_mov_b32_e32 v70, 0                                       // 0000000036FC: 7E8C0280
	v_mov_b32_e32 v135, 0                                      // 000000003700: 7F0E0280
	v_mov_b32_e32 v71, 0                                       // 000000003704: 7E8E0280
	v_mov_b32_e32 v136, 0                                      // 000000003708: 7F100280
	v_mov_b32_e32 v72, 0                                       // 00000000370C: 7E900280
	v_mov_b32_e32 v137, 0                                      // 000000003710: 7F120280
	v_mov_b32_e32 v73, 0                                       // 000000003714: 7E920280
	v_mov_b32_e32 v138, 0                                      // 000000003718: 7F140280
	v_mov_b32_e32 v74, 0                                       // 00000000371C: 7E940280
	v_mov_b32_e32 v139, 0                                      // 000000003720: 7F160280
	v_mov_b32_e32 v75, 0                                       // 000000003724: 7E960280
	v_mov_b32_e32 v140, 0                                      // 000000003728: 7F180280
	v_mov_b32_e32 v76, 0                                       // 00000000372C: 7E980280
	v_mov_b32_e32 v141, 0                                      // 000000003730: 7F1A0280
	v_mov_b32_e32 v77, 0                                       // 000000003734: 7E9A0280
	v_mov_b32_e32 v142, 0                                      // 000000003738: 7F1C0280
	v_mov_b32_e32 v78, 0                                       // 00000000373C: 7E9C0280
	v_mov_b32_e32 v143, 0                                      // 000000003740: 7F1E0280
	v_mov_b32_e32 v79, 0                                       // 000000003744: 7E9E0280
	v_mov_b32_e32 v144, 0                                      // 000000003748: 7F200280
	v_mov_b32_e32 v80, 0                                       // 00000000374C: 7EA00280
	v_mov_b32_e32 v145, 0                                      // 000000003750: 7F220280
	v_mov_b32_e32 v81, 0                                       // 000000003754: 7EA20280
	v_mov_b32_e32 v146, 0                                      // 000000003758: 7F240280
	v_mov_b32_e32 v82, 0                                       // 00000000375C: 7EA40280
	v_mov_b32_e32 v147, 0                                      // 000000003760: 7F260280
	v_mov_b32_e32 v83, 0                                       // 000000003764: 7EA60280
	v_mov_b32_e32 v148, 0                                      // 000000003768: 7F280280
	v_mov_b32_e32 v84, 0                                       // 00000000376C: 7EA80280
	v_mov_b32_e32 v149, 0                                      // 000000003770: 7F2A0280
	v_mov_b32_e32 v85, 0                                       // 000000003774: 7EAA0280
	v_mov_b32_e32 v150, 0                                      // 000000003778: 7F2C0280
	v_mov_b32_e32 v86, 0                                       // 00000000377C: 7EAC0280
	v_mov_b32_e32 v151, 0                                      // 000000003780: 7F2E0280
	v_mov_b32_e32 v87, 0                                       // 000000003784: 7EAE0280
	v_mov_b32_e32 v152, 0                                      // 000000003788: 7F300280
	v_mov_b32_e32 v88, 0                                       // 00000000378C: 7EB00280
	v_mov_b32_e32 v153, 0                                      // 000000003790: 7F320280
	v_mov_b32_e32 v89, 0                                       // 000000003794: 7EB20280
	v_mov_b32_e32 v154, 0                                      // 000000003798: 7F340280
	v_mov_b32_e32 v90, 0                                       // 00000000379C: 7EB40280
	v_mov_b32_e32 v155, 0                                      // 0000000037A0: 7F360280
	v_mov_b32_e32 v91, 0                                       // 0000000037A4: 7EB60280
	v_mov_b32_e32 v156, 0                                      // 0000000037A8: 7F380280
	v_mov_b32_e32 v92, 0                                       // 0000000037AC: 7EB80280
	v_mov_b32_e32 v157, 0                                      // 0000000037B0: 7F3A0280
	v_mov_b32_e32 v93, 0                                       // 0000000037B4: 7EBA0280
	v_mov_b32_e32 v158, 0                                      // 0000000037B8: 7F3C0280
	v_mov_b32_e32 v94, 0                                       // 0000000037BC: 7EBC0280
	v_mov_b32_e32 v159, 0                                      // 0000000037C0: 7F3E0280
	v_mov_b32_e32 v95, 0                                       // 0000000037C4: 7EBE0280
	v_lshrrev_b32_e32 v46, 4, v0                               // 0000000037C8: 205C0084
	v_mul_lo_u32 v4, 34, v46                                   // 0000000037CC: D2850004 00025CA2
	v_and_b32_e32 v46, 15, v0                                  // 0000000037D4: 265C008F
	v_mul_lo_u32 v47, 2, v46                                   // 0000000037D8: D285002F 00025C82
	v_add_u32_e32 v4, v47, v4                                  // 0000000037E0: 6808092F
	s_mul_i32 s60, s7, 0x88                                    // 0000000037E4: 923CFF07 00000088
	v_add_u32_e32 v4, s60, v4                                  // 0000000037EC: 6808083C
	v_lshlrev_b32_e32 v4, 2, v4                                // 0000000037F0: 24080882
	v_lshrrev_b32_e32 v46, 1, v0                               // 0000000037F4: 205C0081
	v_mul_lo_u32 v5, 34, v46                                   // 0000000037F8: D2850005 00025CA2
	v_and_b32_e32 v47, 1, v0                                   // 000000003800: 265E0081
	v_add_u32_e32 v5, v47, v5                                  // 000000003804: 680A0B2F
	s_mov_b32 s60, 0                                           // 000000003808: BEBC0080
	s_lshr_b32 s61, s7, 1                                      // 00000000380C: 8F3D8107
	s_mul_i32 s61, s61, 8                                      // 000000003810: 923D883D
	s_add_u32 s60, s61, s60                                    // 000000003814: 803C3C3D
	s_and_b32 s61, s7, 1                                       // 000000003818: 863D8107
	s_mul_i32 s61, s61, 2                                      // 00000000381C: 923D823D
	s_add_u32 s60, s61, s60                                    // 000000003820: 803C3C3D
	s_mul_i32 s60, 2, s60                                      // 000000003824: 923C3C82
	v_add_u32_e32 v5, s60, v5                                  // 000000003828: 680A0A3C
	v_lshlrev_b32_e32 v5, 2, v5                                // 00000000382C: 240A0A82
	s_waitcnt vmcnt(32)                                        // 000000003830: BF8C8F70
	v_mov_b32_e32 v26, 0                                       // 000000003834: 7E340280
	v_lshlrev_b32_e32 v46, 16, v160                            // 000000003838: 245D4090
	v_and_b32_e32 v47, 0xffff0000, v160                        // 00000000383C: 265F40FF FFFF0000
	v_max3_f32 v26, |v47|, |v46|, v26                          // 000000003844: D1D3031A 046A5D2F
	v_lshlrev_b32_e32 v46, 16, v161                            // 00000000384C: 245D4290
	v_and_b32_e32 v47, 0xffff0000, v161                        // 000000003850: 265F42FF FFFF0000
	v_max3_f32 v26, |v47|, |v46|, v26                          // 000000003858: D1D3031A 046A5D2F
	v_lshlrev_b32_e32 v46, 16, v162                            // 000000003860: 245D4490
	v_and_b32_e32 v47, 0xffff0000, v162                        // 000000003864: 265F44FF FFFF0000
	v_max3_f32 v26, |v47|, |v46|, v26                          // 00000000386C: D1D3031A 046A5D2F
	v_lshlrev_b32_e32 v46, 16, v163                            // 000000003874: 245D4690
	v_and_b32_e32 v47, 0xffff0000, v163                        // 000000003878: 265F46FF FFFF0000
	v_max3_f32 v26, |v47|, |v46|, v26                          // 000000003880: D1D3031A 046A5D2F
	v_lshlrev_b32_e32 v46, 16, v164                            // 000000003888: 245D4890
	v_and_b32_e32 v47, 0xffff0000, v164                        // 00000000388C: 265F48FF FFFF0000
	v_max3_f32 v26, |v47|, |v46|, v26                          // 000000003894: D1D3031A 046A5D2F
	v_lshlrev_b32_e32 v46, 16, v165                            // 00000000389C: 245D4A90
	v_and_b32_e32 v47, 0xffff0000, v165                        // 0000000038A0: 265F4AFF FFFF0000
	v_max3_f32 v26, |v47|, |v46|, v26                          // 0000000038A8: D1D3031A 046A5D2F
	v_lshlrev_b32_e32 v46, 16, v166                            // 0000000038B0: 245D4C90
	v_and_b32_e32 v47, 0xffff0000, v166                        // 0000000038B4: 265F4CFF FFFF0000
	v_max3_f32 v26, |v47|, |v46|, v26                          // 0000000038BC: D1D3031A 046A5D2F
	v_lshlrev_b32_e32 v46, 16, v167                            // 0000000038C4: 245D4E90
	v_and_b32_e32 v47, 0xffff0000, v167                        // 0000000038C8: 265F4EFF FFFF0000
	v_max3_f32 v26, |v47|, |v46|, v26                          // 0000000038D0: D1D3031A 046A5D2F
	s_barrier                                                  // 0000000038D8: BF8A0000
	v_max_f32_dpp v27, v26, v26 quad_perm:[1,2,3,0] row_mask:0xf bank_mask:0xf// 0000000038DC: 163634FA FF00391A
	s_nop 1                                                    // 0000000038E4: BF800001
	v_max_f32_dpp v46, v27, v27 quad_perm:[2,3,0,1] row_mask:0xf bank_mask:0xf// 0000000038E8: 165C36FA FF004E1B
	s_nop 1                                                    // 0000000038F0: BF800001
	v_max_f32_dpp v26, v46, v46 row_half_mirror row_mask:0xf bank_mask:0xf// 0000000038F4: 16345CFA FF01412E
	v_rcp_f32_e32 v46, v26                                     // 0000000038FC: 7E5C451A
	v_mov_b32_e32 v47, 0x43e00000                              // 000000003900: 7E5E02FF 43E00000
	v_mul_f32_e32 v27, v47, v46                                // 000000003908: 0A365D2F
	v_mov_b32_e32 v26, v27                                     // 00000000390C: 7E34031B
	v_lshlrev_b32_e32 v46, 16, v160                            // 000000003910: 245D4090
	v_and_b32_e32 v47, 0xffff0000, v160                        // 000000003914: 265F40FF FFFF0000
	v_pk_mul_f32 v[46:47], v[46:47], v[26:27]                  // 00000000391C: D3B1402E 1802352E
	v_cvt_pk_fp8_f32 v160, v46, v47                            // 000000003924: D2A200A0 00025F2E
	v_lshlrev_b32_e32 v46, 16, v161                            // 00000000392C: 245D4290
	v_and_b32_e32 v47, 0xffff0000, v161                        // 000000003930: 265F42FF FFFF0000
	v_pk_mul_f32 v[46:47], v[46:47], v[26:27]                  // 000000003938: D3B1402E 1802352E
	v_cvt_pk_fp8_f32 v160, v46, v47 op_sel:[0,0,1]             // 000000003940: D2A240A0 00025F2E
	v_lshlrev_b32_e32 v46, 16, v162                            // 000000003948: 245D4490
	v_and_b32_e32 v47, 0xffff0000, v162                        // 00000000394C: 265F44FF FFFF0000
	v_pk_mul_f32 v[46:47], v[46:47], v[26:27]                  // 000000003954: D3B1402E 1802352E
	v_cvt_pk_fp8_f32 v161, v46, v47                            // 00000000395C: D2A200A1 00025F2E
	v_lshlrev_b32_e32 v46, 16, v163                            // 000000003964: 245D4690
	v_and_b32_e32 v47, 0xffff0000, v163                        // 000000003968: 265F46FF FFFF0000
	v_pk_mul_f32 v[46:47], v[46:47], v[26:27]                  // 000000003970: D3B1402E 1802352E
	v_cvt_pk_fp8_f32 v161, v46, v47 op_sel:[0,0,1]             // 000000003978: D2A240A1 00025F2E
	v_lshlrev_b32_e32 v46, 16, v164                            // 000000003980: 245D4890
	v_and_b32_e32 v47, 0xffff0000, v164                        // 000000003984: 265F48FF FFFF0000
	v_pk_mul_f32 v[46:47], v[46:47], v[26:27]                  // 00000000398C: D3B1402E 1802352E
	v_cvt_pk_fp8_f32 v162, v46, v47                            // 000000003994: D2A200A2 00025F2E
	v_lshlrev_b32_e32 v46, 16, v165                            // 00000000399C: 245D4A90
	v_and_b32_e32 v47, 0xffff0000, v165                        // 0000000039A0: 265F4AFF FFFF0000
	v_pk_mul_f32 v[46:47], v[46:47], v[26:27]                  // 0000000039A8: D3B1402E 1802352E
	v_cvt_pk_fp8_f32 v162, v46, v47 op_sel:[0,0,1]             // 0000000039B0: D2A240A2 00025F2E
	v_lshlrev_b32_e32 v46, 16, v166                            // 0000000039B8: 245D4C90
	v_and_b32_e32 v47, 0xffff0000, v166                        // 0000000039BC: 265F4CFF FFFF0000
	v_pk_mul_f32 v[46:47], v[46:47], v[26:27]                  // 0000000039C4: D3B1402E 1802352E
	v_cvt_pk_fp8_f32 v163, v46, v47                            // 0000000039CC: D2A200A3 00025F2E
	v_lshlrev_b32_e32 v46, 16, v167                            // 0000000039D4: 245D4E90
	v_and_b32_e32 v47, 0xffff0000, v167                        // 0000000039D8: 265F4EFF FFFF0000
	v_pk_mul_f32 v[46:47], v[46:47], v[26:27]                  // 0000000039E0: D3B1402E 1802352E
	v_cvt_pk_fp8_f32 v163, v46, v47 op_sel:[0,0,1]             // 0000000039E8: D2A240A3 00025F2E
	v_lshlrev_b32_e32 v46, 4, v0                               // 0000000039F0: 245C0084
	v_add_u32_e64 v46, v46, s50                                // 0000000039F4: D134002E 0000652E
	ds_write_b128 v46, v[160:163]                              // 0000000039FC: D9BE0000 0000A02E
	v_rcp_f32_e32 v28, v27                                     // 000000003A04: 7E38451B
	v_add_u32_e32 v46, 0, v30                                  // 000000003A08: 685C3C80
	s_mov_b64 s[60:61], exec                                   // 000000003A0C: BEBC017E
	s_mov_b32 s62, 0xf0f0f0f                                   // 000000003A10: BEBE00FF 0F0F0F0F
	s_mov_b32 s63, 0xf0f0f0f                                   // 000000003A18: BEBF00FF 0F0F0F0F
	s_mov_b64 exec, s[62:63]                                   // 000000003A20: BEFE013E
	ds_write_b32 v46, v28 offset:4352                          // 000000003A24: D81A1100 00001C2E
	s_mov_b64 exec, s[60:61]                                   // 000000003A2C: BEFE013C
	s_waitcnt lgkmcnt(0)                                       // 000000003A30: BF8CC07F
	s_barrier                                                  // 000000003A34: BF8A0000
	ds_read_b128 v[160:163], v2                                // 000000003A38: D9FE0000 A0000002
	ds_read_b128 v[164:167], v2 offset:64                      // 000000003A40: D9FE0040 A4000002
	ds_read_b128 v[168:171], v2 offset:512                     // 000000003A48: D9FE0200 A8000002
	ds_read_b128 v[172:175], v2 offset:576                     // 000000003A50: D9FE0240 AC000002
	ds_read_b32 v15, v3 offset:4352                            // 000000003A58: D86C1100 0F000003
	ds_read_b32 v16, v3 offset:4608                            // 000000003A60: D86C1200 10000003
	ds_read_b32 v17, v3 offset:4864                            // 000000003A68: D86C1300 11000003
	ds_read_b32 v18, v3 offset:5120                            // 000000003A70: D86C1400 12000003
	s_cmp_eq_u32 s98, 1                                        // 000000003A78: BF068162
	s_cbranch_scc0 label_0332                                  // 000000003A7C: BF840012
	s_cmp_eq_u32 s7, 0                                         // 000000003A80: BF068007
	s_cbranch_scc0 label_0331                                  // 000000003A84: BF84000F
	s_mov_b64 exec, 1                                          // 000000003A88: BEFE0181
	s_mov_b32 s61, 0xdeadc0de                                  // 000000003A8C: BEBD00FF DEADC0DE

0000000000003a94 <label_0325>:
	s_sleep 2                                                  // 000000003A94: BF8E0002
	v_mov_b32_e32 v192, s99                                    // 000000003A98: 7F800263
	global_load_dwordx2 v[200:201], v192, s[8:9] sc0 sc1       // 000000003A9C: DE558000 C80800C0
	s_waitcnt vmcnt(0)                                         // 000000003AA4: BF8C0F70
	v_readfirstlane_b32 s60, v200                              // 000000003AA8: 7E7805C8
	v_readfirstlane_b32 s62, v201                              // 000000003AAC: 7E7C05C9
	s_cmp_eq_u32 s62, s61                                      // 000000003AB0: BF063D3E
	s_cbranch_scc0 label_0325                                  // 000000003AB4: BF84FFF7
	s_cmp_eq_u32 s60, s96                                      // 000000003AB8: BF06603C
	s_cbranch_scc0 label_0325                                  // 000000003ABC: BF84FFF5
	s_mov_b64 exec, -1                                         // 000000003AC0: BEFE01C1

0000000000003ac4 <label_0331>:
	s_barrier                                                  // 000000003AC4: BF8A0000

0000000000003ac8 <label_0332>:
	s_cmp_lt_i32 s7, 2                                         // 000000003AC8: BF048207
	s_cbranch_scc0 label_0D38                                  // 000000003ACC: BF840A04

0000000000003ad0 <label_0334>:
	s_waitcnt vmcnt(28) lgkmcnt(0)                             // 000000003AD0: BF8C407C
	s_barrier                                                  // 000000003AD4: BF8A0000
	v_mfma_f32_16x16x128_f8f6f4 v[144:147], a[0:7], v[160:167], 0// 000000003AD8: D3AD0090 0A034100
	v_mfma_f32_16x16x128_f8f6f4 v[148:151], a[8:15], v[160:167], 0// 000000003AE0: D3AD0094 0A034108
	buffer_load_dwordx4 v[176:179], v31, s[20:23], 0 offen     // 000000003AE8: E05C1000 8005B01F
	buffer_load_dwordx4 v[180:183], v31, s[20:23], 0 offen offset:16// 000000003AF0: E05C1010 8005B41F
	buffer_load_dword v20, v11, s[32:35], 0 offen              // 000000003AF8: E0501000 8008140B
	buffer_load_dword v22, v13, s[32:35], 0 offen              // 000000003B00: E0501000 8008160D
	buffer_load_dwordx4 a[128:131], v33, s[24:27], 0 offen     // 000000003B08: E05C1000 80868021
	buffer_load_dwordx4 a[132:135], v33, s[24:27], 0 offen offset:1024// 000000003B10: E05C1400 80868421
	buffer_load_dwordx4 a[136:139], v34, s[24:27], 0 offen     // 000000003B18: E05C1000 80868822
	buffer_load_dwordx4 a[140:143], v34, s[24:27], 0 offen offset:1024// 000000003B20: E05C1400 80868C22
	s_waitcnt vmcnt(20)                                        // 000000003B28: BF8C4F74
	v_mfma_f32_16x16x128_f8f6f4 v[152:155], a[16:23], v[160:167], 0// 000000003B2C: D3AD0098 0A034110
	v_mfma_f32_16x16x128_f8f6f4 v[156:159], a[24:31], v[160:167], 0// 000000003B34: D3AD009C 0A034118
	buffer_load_dwordx4 a[144:147], v35, s[24:27], 0 offen     // 000000003B3C: E05C1000 80869023
	buffer_load_dwordx4 a[148:151], v35, s[24:27], 0 offen offset:1024// 000000003B44: E05C1400 80869423
	buffer_load_dwordx4 a[152:155], v36, s[24:27], 0 offen     // 000000003B4C: E05C1000 80869824
	buffer_load_dwordx4 a[156:159], v36, s[24:27], 0 offen offset:1024// 000000003B54: E05C1400 80869C24
	v_mul_f32_dpp v46, v19, v15 row_newbcast:0 row_mask:0xf bank_mask:0xf// 000000003B5C: 0A5C1EFA FF015013
	v_mov_b32_e32 v47, v46                                     // 000000003B64: 7E5E032E
	v_pk_fma_f32 v[128:129], v[144:145], v[46:47], v[128:129]  // 000000003B68: D3B04080 1E025D90
	v_pk_fma_f32 v[130:131], v[146:147], v[46:47], v[130:131]  // 000000003B70: D3B04082 1E0A5D92
	v_pk_fma_f32 v[132:133], v[148:149], v[46:47], v[132:133]  // 000000003B78: D3B04084 1E125D94
	v_pk_fma_f32 v[134:135], v[150:151], v[46:47], v[134:135]  // 000000003B80: D3B04086 1E1A5D96
	v_mul_f32_dpp v46, v19, v15 row_newbcast:1 row_mask:0xf bank_mask:0xf// 000000003B88: 0A5C1EFA FF015113
	v_mov_b32_e32 v47, v46                                     // 000000003B90: 7E5E032E
	v_pk_fma_f32 v[136:137], v[152:153], v[46:47], v[136:137]  // 000000003B94: D3B04088 1E225D98
	v_pk_fma_f32 v[138:139], v[154:155], v[46:47], v[138:139]  // 000000003B9C: D3B0408A 1E2A5D9A
	v_pk_fma_f32 v[140:141], v[156:157], v[46:47], v[140:141]  // 000000003BA4: D3B0408C 1E325D9C
	v_pk_fma_f32 v[142:143], v[158:159], v[46:47], v[142:143]  // 000000003BAC: D3B0408E 1E3A5D9E
	s_waitcnt vmcnt(20)                                        // 000000003BB4: BF8C4F74
	v_mfma_f32_16x16x128_f8f6f4 v[144:147], a[32:39], v[168:175], 0// 000000003BB8: D3AD0090 0A035120
	v_mfma_f32_16x16x128_f8f6f4 v[148:151], a[40:47], v[168:175], 0// 000000003BC0: D3AD0094 0A035128
	buffer_load_dwordx4 a[160:163], v33, s[24:27], 0 offen offset:2048// 000000003BC8: E05C1800 8086A021
	buffer_load_dwordx4 a[164:167], v33, s[24:27], 0 offen offset:3072// 000000003BD0: E05C1C00 8086A421
	buffer_load_dwordx4 a[168:171], v34, s[24:27], 0 offen offset:2048// 000000003BD8: E05C1800 8086A822
	buffer_load_dwordx4 a[172:175], v34, s[24:27], 0 offen offset:3072// 000000003BE0: E05C1C00 8086AC22
	s_waitcnt vmcnt(20)                                        // 000000003BE8: BF8C4F74
	v_mfma_f32_16x16x128_f8f6f4 v[152:155], a[48:55], v[168:175], 0// 000000003BEC: D3AD0098 0A035130
	v_mfma_f32_16x16x128_f8f6f4 v[156:159], a[56:63], v[168:175], 0// 000000003BF4: D3AD009C 0A035138
	buffer_load_dwordx4 a[176:179], v35, s[24:27], 0 offen offset:2048// 000000003BFC: E05C1800 8086B023
	buffer_load_dwordx4 a[180:183], v35, s[24:27], 0 offen offset:3072// 000000003C04: E05C1C00 8086B423
	buffer_load_dwordx4 a[184:187], v36, s[24:27], 0 offen offset:2048// 000000003C0C: E05C1800 8086B824
	buffer_load_dwordx4 a[188:191], v36, s[24:27], 0 offen offset:3072// 000000003C14: E05C1C00 8086BC24
	v_mul_f32_dpp v46, v19, v16 row_newbcast:2 row_mask:0xf bank_mask:0xf// 000000003C1C: 0A5C20FA FF015213
	v_mov_b32_e32 v47, v46                                     // 000000003C24: 7E5E032E
	v_pk_fma_f32 v[128:129], v[144:145], v[46:47], v[128:129]  // 000000003C28: D3B04080 1E025D90
	v_pk_fma_f32 v[130:131], v[146:147], v[46:47], v[130:131]  // 000000003C30: D3B04082 1E0A5D92
	v_pk_fma_f32 v[132:133], v[148:149], v[46:47], v[132:133]  // 000000003C38: D3B04084 1E125D94
	v_pk_fma_f32 v[134:135], v[150:151], v[46:47], v[134:135]  // 000000003C40: D3B04086 1E1A5D96
	v_mul_f32_dpp v46, v19, v16 row_newbcast:3 row_mask:0xf bank_mask:0xf// 000000003C48: 0A5C20FA FF015313
	v_mov_b32_e32 v47, v46                                     // 000000003C50: 7E5E032E
	v_pk_fma_f32 v[136:137], v[152:153], v[46:47], v[136:137]  // 000000003C54: D3B04088 1E225D98
	v_pk_fma_f32 v[138:139], v[154:155], v[46:47], v[138:139]  // 000000003C5C: D3B0408A 1E2A5D9A
	v_pk_fma_f32 v[140:141], v[156:157], v[46:47], v[140:141]  // 000000003C64: D3B0408C 1E325D9C
	v_pk_fma_f32 v[142:143], v[158:159], v[46:47], v[142:143]  // 000000003C6C: D3B0408E 1E3A5D9E
	s_add_u32 s60, 0x200, s80                                  // 000000003C74: 803C50FF 00000200
	s_cmp_lt_u32 s60, s81                                      // 000000003C7C: BF0A513C
	s_cselect_b32 s4, s4, 0                                    // 000000003C80: 85048004
	s_add_u32 s32, s4, s32                                     // 000000003C84: 80202004
	s_addc_u32 s33, 0, s33                                     // 000000003C88: 82212180
	s_waitcnt vmcnt(0)                                         // 000000003C8C: BF8C0F70
	s_barrier                                                  // 000000003C90: BF8A0000
	v_mfma_f32_16x16x128_f8f6f4 v[144:147], a[64:71], v[160:167], 0// 000000003C94: D3AD0090 0A034140
	v_mfma_f32_16x16x128_f8f6f4 v[148:151], a[72:79], v[160:167], 0// 000000003C9C: D3AD0094 0A034148
	buffer_load_dwordx4 a[192:195], v33, s[92:95], 0 offen     // 000000003CA4: E05C1000 8097C021
	buffer_load_dwordx4 a[196:199], v33, s[92:95], 0 offen offset:1024// 000000003CAC: E05C1400 8097C421
	buffer_load_dwordx4 a[200:203], v34, s[92:95], 0 offen     // 000000003CB4: E05C1000 8097C822
	buffer_load_dwordx4 a[204:207], v34, s[92:95], 0 offen offset:1024// 000000003CBC: E05C1400 8097CC22
	s_waitcnt vmcnt(4)                                         // 000000003CC4: BF8C0F74
	v_mfma_f32_16x16x128_f8f6f4 v[152:155], a[80:87], v[160:167], 0// 000000003CC8: D3AD0098 0A034150
	v_mfma_f32_16x16x128_f8f6f4 v[156:159], a[88:95], v[160:167], 0// 000000003CD0: D3AD009C 0A034158
	buffer_load_dwordx4 a[208:211], v35, s[92:95], 0 offen     // 000000003CD8: E05C1000 8097D023
	buffer_load_dwordx4 a[212:215], v35, s[92:95], 0 offen offset:1024// 000000003CE0: E05C1400 8097D423
	buffer_load_dwordx4 a[216:219], v36, s[92:95], 0 offen     // 000000003CE8: E05C1000 8097D824
	buffer_load_dwordx4 a[220:223], v36, s[92:95], 0 offen offset:1024// 000000003CF0: E05C1400 8097DC24
	s_waitcnt vmcnt(8)                                         // 000000003CF8: BF8C0F78
	v_mov_b32_e32 v26, 0                                       // 000000003CFC: 7E340280
	v_lshlrev_b32_e32 v46, 16, v176                            // 000000003D00: 245D6090
	v_and_b32_e32 v47, 0xffff0000, v176                        // 000000003D04: 265F60FF FFFF0000
	v_max3_f32 v26, |v47|, |v46|, v26                          // 000000003D0C: D1D3031A 046A5D2F
	v_lshlrev_b32_e32 v46, 16, v177                            // 000000003D14: 245D6290
	v_and_b32_e32 v47, 0xffff0000, v177                        // 000000003D18: 265F62FF FFFF0000
	v_max3_f32 v26, |v47|, |v46|, v26                          // 000000003D20: D1D3031A 046A5D2F
	v_lshlrev_b32_e32 v46, 16, v178                            // 000000003D28: 245D6490
	v_and_b32_e32 v47, 0xffff0000, v178                        // 000000003D2C: 265F64FF FFFF0000
	v_max3_f32 v26, |v47|, |v46|, v26                          // 000000003D34: D1D3031A 046A5D2F
	v_lshlrev_b32_e32 v46, 16, v179                            // 000000003D3C: 245D6690
	v_and_b32_e32 v47, 0xffff0000, v179                        // 000000003D40: 265F66FF FFFF0000
	v_max3_f32 v26, |v47|, |v46|, v26                          // 000000003D48: D1D3031A 046A5D2F
	v_lshlrev_b32_e32 v46, 16, v180                            // 000000003D50: 245D6890
	v_and_b32_e32 v47, 0xffff0000, v180                        // 000000003D54: 265F68FF FFFF0000
	v_max3_f32 v26, |v47|, |v46|, v26                          // 000000003D5C: D1D3031A 046A5D2F
	v_lshlrev_b32_e32 v46, 16, v181                            // 000000003D64: 245D6A90
	v_and_b32_e32 v47, 0xffff0000, v181                        // 000000003D68: 265F6AFF FFFF0000
	v_max3_f32 v26, |v47|, |v46|, v26                          // 000000003D70: D1D3031A 046A5D2F
	v_lshlrev_b32_e32 v46, 16, v182                            // 000000003D78: 245D6C90
	v_and_b32_e32 v47, 0xffff0000, v182                        // 000000003D7C: 265F6CFF FFFF0000
	v_max3_f32 v26, |v47|, |v46|, v26                          // 000000003D84: D1D3031A 046A5D2F
	v_lshlrev_b32_e32 v46, 16, v183                            // 000000003D8C: 245D6E90
	v_and_b32_e32 v47, 0xffff0000, v183                        // 000000003D90: 265F6EFF FFFF0000
	v_max3_f32 v26, |v47|, |v46|, v26                          // 000000003D98: D1D3031A 046A5D2F
	s_barrier                                                  // 000000003DA0: BF8A0000
	v_max_f32_dpp v27, v26, v26 quad_perm:[1,2,3,0] row_mask:0xf bank_mask:0xf// 000000003DA4: 163634FA FF00391A
	s_nop 1                                                    // 000000003DAC: BF800001
	v_max_f32_dpp v46, v27, v27 quad_perm:[2,3,0,1] row_mask:0xf bank_mask:0xf// 000000003DB0: 165C36FA FF004E1B
	s_nop 1                                                    // 000000003DB8: BF800001
	v_max_f32_dpp v26, v46, v46 row_half_mirror row_mask:0xf bank_mask:0xf// 000000003DBC: 16345CFA FF01412E
	v_rcp_f32_e32 v46, v26                                     // 000000003DC4: 7E5C451A
	v_mov_b32_e32 v47, 0x43e00000                              // 000000003DC8: 7E5E02FF 43E00000
	v_mul_f32_e32 v27, v47, v46                                // 000000003DD0: 0A365D2F
	v_mov_b32_e32 v26, v27                                     // 000000003DD4: 7E34031B
	v_lshlrev_b32_e32 v46, 16, v176                            // 000000003DD8: 245D6090
	v_and_b32_e32 v47, 0xffff0000, v176                        // 000000003DDC: 265F60FF FFFF0000
	v_pk_mul_f32 v[46:47], v[46:47], v[26:27]                  // 000000003DE4: D3B1402E 1802352E
	v_cvt_pk_fp8_f32 v176, v46, v47                            // 000000003DEC: D2A200B0 00025F2E
	v_lshlrev_b32_e32 v46, 16, v177                            // 000000003DF4: 245D6290
	v_and_b32_e32 v47, 0xffff0000, v177                        // 000000003DF8: 265F62FF FFFF0000
	v_pk_mul_f32 v[46:47], v[46:47], v[26:27]                  // 000000003E00: D3B1402E 1802352E
	v_cvt_pk_fp8_f32 v176, v46, v47 op_sel:[0,0,1]             // 000000003E08: D2A240B0 00025F2E
	v_lshlrev_b32_e32 v46, 16, v178                            // 000000003E10: 245D6490
	v_and_b32_e32 v47, 0xffff0000, v178                        // 000000003E14: 265F64FF FFFF0000
	v_pk_mul_f32 v[46:47], v[46:47], v[26:27]                  // 000000003E1C: D3B1402E 1802352E
	v_cvt_pk_fp8_f32 v177, v46, v47                            // 000000003E24: D2A200B1 00025F2E
	v_lshlrev_b32_e32 v46, 16, v179                            // 000000003E2C: 245D6690
	v_and_b32_e32 v47, 0xffff0000, v179                        // 000000003E30: 265F66FF FFFF0000
	v_pk_mul_f32 v[46:47], v[46:47], v[26:27]                  // 000000003E38: D3B1402E 1802352E
	v_cvt_pk_fp8_f32 v177, v46, v47 op_sel:[0,0,1]             // 000000003E40: D2A240B1 00025F2E
	v_lshlrev_b32_e32 v46, 16, v180                            // 000000003E48: 245D6890
	v_and_b32_e32 v47, 0xffff0000, v180                        // 000000003E4C: 265F68FF FFFF0000
	v_pk_mul_f32 v[46:47], v[46:47], v[26:27]                  // 000000003E54: D3B1402E 1802352E
	v_cvt_pk_fp8_f32 v178, v46, v47                            // 000000003E5C: D2A200B2 00025F2E
	v_lshlrev_b32_e32 v46, 16, v181                            // 000000003E64: 245D6A90
	v_and_b32_e32 v47, 0xffff0000, v181                        // 000000003E68: 265F6AFF FFFF0000
	v_pk_mul_f32 v[46:47], v[46:47], v[26:27]                  // 000000003E70: D3B1402E 1802352E
	v_cvt_pk_fp8_f32 v178, v46, v47 op_sel:[0,0,1]             // 000000003E78: D2A240B2 00025F2E
	v_lshlrev_b32_e32 v46, 16, v182                            // 000000003E80: 245D6C90
	v_and_b32_e32 v47, 0xffff0000, v182                        // 000000003E84: 265F6CFF FFFF0000
	v_pk_mul_f32 v[46:47], v[46:47], v[26:27]                  // 000000003E8C: D3B1402E 1802352E
	v_cvt_pk_fp8_f32 v179, v46, v47                            // 000000003E94: D2A200B3 00025F2E
	v_lshlrev_b32_e32 v46, 16, v183                            // 000000003E9C: 245D6E90
	v_and_b32_e32 v47, 0xffff0000, v183                        // 000000003EA0: 265F6EFF FFFF0000
	v_pk_mul_f32 v[46:47], v[46:47], v[26:27]                  // 000000003EA8: D3B1402E 1802352E
	v_cvt_pk_fp8_f32 v179, v46, v47 op_sel:[0,0,1]             // 000000003EB0: D2A240B3 00025F2E
	v_lshlrev_b32_e32 v46, 4, v0                               // 000000003EB8: 245C0084
	v_add_u32_e64 v46, v46, s51                                // 000000003EBC: D134002E 0000672E
	ds_write_b128 v46, v[176:179]                              // 000000003EC4: D9BE0000 0000B02E
	v_rcp_f32_e32 v28, v27                                     // 000000003ECC: 7E38451B
	v_add_u32_e32 v46, 0, v30                                  // 000000003ED0: 685C3C80
	s_mov_b64 s[60:61], exec                                   // 000000003ED4: BEBC017E
	s_mov_b32 s62, 0xf0f0f0f                                   // 000000003ED8: BEBE00FF 0F0F0F0F
	s_mov_b32 s63, 0xf0f0f0f                                   // 000000003EE0: BEBF00FF 0F0F0F0F
	s_mov_b64 exec, s[62:63]                                   // 000000003EE8: BEFE013E
	ds_write_b32 v46, v28 offset:9728                          // 000000003EEC: D81A2600 00001C2E
	s_mov_b64 exec, s[60:61]                                   // 000000003EF4: BEFE013C
	v_mul_f32_dpp v46, v21, v15 row_newbcast:0 row_mask:0xf bank_mask:0xf// 000000003EF8: 0A5C1EFA FF015015
	v_mov_b32_e32 v47, v46                                     // 000000003F00: 7E5E032E
	v_pk_fma_f32 v[64:65], v[144:145], v[46:47], v[64:65]      // 000000003F04: D3B04040 1D025D90
	v_pk_fma_f32 v[66:67], v[146:147], v[46:47], v[66:67]      // 000000003F0C: D3B04042 1D0A5D92
	v_pk_fma_f32 v[68:69], v[148:149], v[46:47], v[68:69]      // 000000003F14: D3B04044 1D125D94
	v_pk_fma_f32 v[70:71], v[150:151], v[46:47], v[70:71]      // 000000003F1C: D3B04046 1D1A5D96
	v_mul_f32_dpp v46, v21, v15 row_newbcast:1 row_mask:0xf bank_mask:0xf// 000000003F24: 0A5C1EFA FF015115
	v_mov_b32_e32 v47, v46                                     // 000000003F2C: 7E5E032E
	v_pk_fma_f32 v[72:73], v[152:153], v[46:47], v[72:73]      // 000000003F30: D3B04048 1D225D98
	v_pk_fma_f32 v[74:75], v[154:155], v[46:47], v[74:75]      // 000000003F38: D3B0404A 1D2A5D9A
	v_pk_fma_f32 v[76:77], v[156:157], v[46:47], v[76:77]      // 000000003F40: D3B0404C 1D325D9C
	v_pk_fma_f32 v[78:79], v[158:159], v[46:47], v[78:79]      // 000000003F48: D3B0404E 1D3A5D9E
	s_waitcnt vmcnt(4)                                         // 000000003F50: BF8C0F74
	v_mfma_f32_16x16x128_f8f6f4 v[144:147], a[96:103], v[168:175], 0// 000000003F54: D3AD0090 0A035160
	s_waitcnt lgkmcnt(0)                                       // 000000003F5C: BF8CC07F
	s_barrier                                                  // 000000003F60: BF8A0000
	ds_read_b128 v[176:179], v2 offset:5376                    // 000000003F64: D9FE1500 B0000002
	ds_read_b128 v[180:183], v2 offset:5440                    // 000000003F6C: D9FE1540 B4000002
	ds_read_b32 v17, v3 offset:9728                            // 000000003F74: D86C2600 11000003
	v_mfma_f32_16x16x128_f8f6f4 v[148:151], a[104:111], v[168:175], 0// 000000003F7C: D3AD0094 0A035168
	buffer_load_dwordx4 a[224:227], v33, s[92:95], 0 offen offset:2048// 000000003F84: E05C1800 8097E021
	buffer_load_dwordx4 a[228:231], v33, s[92:95], 0 offen offset:3072// 000000003F8C: E05C1C00 8097E421
	buffer_load_dwordx4 a[232:235], v34, s[92:95], 0 offen offset:2048// 000000003F94: E05C1800 8097E822
	buffer_load_dwordx4 a[236:239], v34, s[92:95], 0 offen offset:3072// 000000003F9C: E05C1C00 8097EC22
	s_waitcnt vmcnt(4)                                         // 000000003FA4: BF8C0F74
	v_mfma_f32_16x16x128_f8f6f4 v[152:155], a[112:119], v[168:175], 0// 000000003FA8: D3AD0098 0A035170
	ds_read_b128 v[184:187], v2 offset:5888                    // 000000003FB0: D9FE1700 B8000002
	ds_read_b128 v[188:191], v2 offset:5952                    // 000000003FB8: D9FE1740 BC000002
	ds_read_b32 v18, v3 offset:9984                            // 000000003FC0: D86C2700 12000003
	v_mfma_f32_16x16x128_f8f6f4 v[156:159], a[120:127], v[168:175], 0// 000000003FC8: D3AD009C 0A035178
	buffer_load_dwordx4 a[240:243], v35, s[92:95], 0 offen offset:2048// 000000003FD0: E05C1800 8097F023
	buffer_load_dwordx4 a[244:247], v35, s[92:95], 0 offen offset:3072// 000000003FD8: E05C1C00 8097F423
	buffer_load_dwordx4 a[248:251], v36, s[92:95], 0 offen offset:2048// 000000003FE0: E05C1800 8097F824
	buffer_load_dwordx4 a[252:255], v36, s[92:95], 0 offen offset:3072// 000000003FE8: E05C1C00 8097FC24
	v_mul_f32_dpp v46, v21, v16 row_newbcast:2 row_mask:0xf bank_mask:0xf// 000000003FF0: 0A5C20FA FF015215
	v_mov_b32_e32 v47, v46                                     // 000000003FF8: 7E5E032E
	v_pk_fma_f32 v[64:65], v[144:145], v[46:47], v[64:65]      // 000000003FFC: D3B04040 1D025D90
	v_pk_fma_f32 v[66:67], v[146:147], v[46:47], v[66:67]      // 000000004004: D3B04042 1D0A5D92
	v_pk_fma_f32 v[68:69], v[148:149], v[46:47], v[68:69]      // 00000000400C: D3B04044 1D125D94
	v_pk_fma_f32 v[70:71], v[150:151], v[46:47], v[70:71]      // 000000004014: D3B04046 1D1A5D96
	v_mul_f32_dpp v46, v21, v16 row_newbcast:3 row_mask:0xf bank_mask:0xf// 00000000401C: 0A5C20FA FF015315
	v_mov_b32_e32 v47, v46                                     // 000000004024: 7E5E032E
	v_pk_fma_f32 v[72:73], v[152:153], v[46:47], v[72:73]      // 000000004028: D3B04048 1D225D98
	v_pk_fma_f32 v[74:75], v[154:155], v[46:47], v[74:75]      // 000000004030: D3B0404A 1D2A5D9A
	v_pk_fma_f32 v[76:77], v[156:157], v[46:47], v[76:77]      // 000000004038: D3B0404C 1D325D9C
	v_pk_fma_f32 v[78:79], v[158:159], v[46:47], v[78:79]      // 000000004040: D3B0404E 1D3A5D9E
	s_add_u32 s60, 0x200, s80                                  // 000000004048: 803C50FF 00000200
	s_cmp_lt_u32 s60, s81                                      // 000000004050: BF0A513C
	s_cselect_b32 s57, s57, 0                                  // 000000004054: 85398039
	s_add_u32 s60, 0x200, s80                                  // 000000004058: 803C50FF 00000200
	s_cmp_lt_u32 s60, s81                                      // 000000004060: BF0A513C
	s_cselect_b32 s58, s58, 0                                  // 000000004064: 853A803A
	s_cselect_b32 s90, s90, 0                                  // 000000004068: 855A805A
	s_add_u32 s20, s57, s20                                    // 00000000406C: 80141439
	s_addc_u32 s21, 0, s21                                     // 000000004070: 82151580
	s_add_u32 s24, s58, s24                                    // 000000004074: 8018183A
	s_addc_u32 s25, 0, s25                                     // 000000004078: 82191980
	s_add_u32 s92, s90, s92                                    // 00000000407C: 805C5C5A
	s_addc_u32 s93, 0, s93                                     // 000000004080: 825D5D80
	s_addk_i32 s80, 0x100                                      // 000000004084: B7500100
	s_cmp_lt_i32 s80, s81                                      // 000000004088: BF045150
	s_cbranch_scc0 label_0615                                  // 00000000408C: BF840171
	s_waitcnt vmcnt(28) lgkmcnt(0)                             // 000000004090: BF8C407C
	s_barrier                                                  // 000000004094: BF8A0000
	v_mfma_f32_16x16x128_f8f6f4 v[144:147], a[128:135], v[176:183], 0// 000000004098: D3AD0090 0A036180
	v_mfma_f32_16x16x128_f8f6f4 v[148:151], a[136:143], v[176:183], 0// 0000000040A0: D3AD0094 0A036188
	buffer_load_dwordx4 v[160:163], v31, s[20:23], 0 offen     // 0000000040A8: E05C1000 8005A01F
	buffer_load_dwordx4 v[164:167], v31, s[20:23], 0 offen offset:16// 0000000040B0: E05C1010 8005A41F
	buffer_load_dword v19, v11, s[32:35], 0 offen              // 0000000040B8: E0501000 8008130B
	buffer_load_dword v21, v13, s[32:35], 0 offen              // 0000000040C0: E0501000 8008150D
	buffer_load_dwordx4 a[0:3], v33, s[24:27], 0 offen         // 0000000040C8: E05C1000 80860021
	buffer_load_dwordx4 a[4:7], v33, s[24:27], 0 offen offset:1024// 0000000040D0: E05C1400 80860421
	buffer_load_dwordx4 a[8:11], v34, s[24:27], 0 offen        // 0000000040D8: E05C1000 80860822
	buffer_load_dwordx4 a[12:15], v34, s[24:27], 0 offen offset:1024// 0000000040E0: E05C1400 80860C22
	s_waitcnt vmcnt(20)                                        // 0000000040E8: BF8C4F74
	v_mfma_f32_16x16x128_f8f6f4 v[152:155], a[144:151], v[176:183], 0// 0000000040EC: D3AD0098 0A036190
	v_mfma_f32_16x16x128_f8f6f4 v[156:159], a[152:159], v[176:183], 0// 0000000040F4: D3AD009C 0A036198
	buffer_load_dwordx4 a[16:19], v35, s[24:27], 0 offen       // 0000000040FC: E05C1000 80861023
	buffer_load_dwordx4 a[20:23], v35, s[24:27], 0 offen offset:1024// 000000004104: E05C1400 80861423
	buffer_load_dwordx4 a[24:27], v36, s[24:27], 0 offen       // 00000000410C: E05C1000 80861824
	buffer_load_dwordx4 a[28:31], v36, s[24:27], 0 offen offset:1024// 000000004114: E05C1400 80861C24
	v_mul_f32_dpp v46, v20, v17 row_newbcast:0 row_mask:0xf bank_mask:0xf// 00000000411C: 0A5C22FA FF015014
	v_mov_b32_e32 v47, v46                                     // 000000004124: 7E5E032E
	v_pk_fma_f32 v[128:129], v[144:145], v[46:47], v[128:129]  // 000000004128: D3B04080 1E025D90
	v_pk_fma_f32 v[130:131], v[146:147], v[46:47], v[130:131]  // 000000004130: D3B04082 1E0A5D92
	v_pk_fma_f32 v[132:133], v[148:149], v[46:47], v[132:133]  // 000000004138: D3B04084 1E125D94
	v_pk_fma_f32 v[134:135], v[150:151], v[46:47], v[134:135]  // 000000004140: D3B04086 1E1A5D96
	v_mul_f32_dpp v46, v20, v17 row_newbcast:1 row_mask:0xf bank_mask:0xf// 000000004148: 0A5C22FA FF015114
	v_mov_b32_e32 v47, v46                                     // 000000004150: 7E5E032E
	v_pk_fma_f32 v[136:137], v[152:153], v[46:47], v[136:137]  // 000000004154: D3B04088 1E225D98
	v_pk_fma_f32 v[138:139], v[154:155], v[46:47], v[138:139]  // 00000000415C: D3B0408A 1E2A5D9A
	v_pk_fma_f32 v[140:141], v[156:157], v[46:47], v[140:141]  // 000000004164: D3B0408C 1E325D9C
	v_pk_fma_f32 v[142:143], v[158:159], v[46:47], v[142:143]  // 00000000416C: D3B0408E 1E3A5D9E
	s_waitcnt vmcnt(20)                                        // 000000004174: BF8C4F74
	v_mfma_f32_16x16x128_f8f6f4 v[144:147], a[160:167], v[184:191], 0// 000000004178: D3AD0090 0A0371A0
	v_mfma_f32_16x16x128_f8f6f4 v[148:151], a[168:175], v[184:191], 0// 000000004180: D3AD0094 0A0371A8
	buffer_load_dwordx4 a[32:35], v33, s[24:27], 0 offen offset:2048// 000000004188: E05C1800 80862021
	buffer_load_dwordx4 a[36:39], v33, s[24:27], 0 offen offset:3072// 000000004190: E05C1C00 80862421
	buffer_load_dwordx4 a[40:43], v34, s[24:27], 0 offen offset:2048// 000000004198: E05C1800 80862822
	buffer_load_dwordx4 a[44:47], v34, s[24:27], 0 offen offset:3072// 0000000041A0: E05C1C00 80862C22
	s_waitcnt vmcnt(20)                                        // 0000000041A8: BF8C4F74
	v_mfma_f32_16x16x128_f8f6f4 v[152:155], a[176:183], v[184:191], 0// 0000000041AC: D3AD0098 0A0371B0
	v_mfma_f32_16x16x128_f8f6f4 v[156:159], a[184:191], v[184:191], 0// 0000000041B4: D3AD009C 0A0371B8
	buffer_load_dwordx4 a[48:51], v35, s[24:27], 0 offen offset:2048// 0000000041BC: E05C1800 80863023
	buffer_load_dwordx4 a[52:55], v35, s[24:27], 0 offen offset:3072// 0000000041C4: E05C1C00 80863423
	buffer_load_dwordx4 a[56:59], v36, s[24:27], 0 offen offset:2048// 0000000041CC: E05C1800 80863824
	buffer_load_dwordx4 a[60:63], v36, s[24:27], 0 offen offset:3072// 0000000041D4: E05C1C00 80863C24
	v_mul_f32_dpp v46, v20, v18 row_newbcast:2 row_mask:0xf bank_mask:0xf// 0000000041DC: 0A5C24FA FF015214
	v_mov_b32_e32 v47, v46                                     // 0000000041E4: 7E5E032E
	v_pk_fma_f32 v[128:129], v[144:145], v[46:47], v[128:129]  // 0000000041E8: D3B04080 1E025D90
	v_pk_fma_f32 v[130:131], v[146:147], v[46:47], v[130:131]  // 0000000041F0: D3B04082 1E0A5D92
	v_pk_fma_f32 v[132:133], v[148:149], v[46:47], v[132:133]  // 0000000041F8: D3B04084 1E125D94
	v_pk_fma_f32 v[134:135], v[150:151], v[46:47], v[134:135]  // 000000004200: D3B04086 1E1A5D96
	v_mul_f32_dpp v46, v20, v18 row_newbcast:3 row_mask:0xf bank_mask:0xf// 000000004208: 0A5C24FA FF015314
	v_mov_b32_e32 v47, v46                                     // 000000004210: 7E5E032E
	v_pk_fma_f32 v[136:137], v[152:153], v[46:47], v[136:137]  // 000000004214: D3B04088 1E225D98
	v_pk_fma_f32 v[138:139], v[154:155], v[46:47], v[138:139]  // 00000000421C: D3B0408A 1E2A5D9A
	v_pk_fma_f32 v[140:141], v[156:157], v[46:47], v[140:141]  // 000000004224: D3B0408C 1E325D9C
	v_pk_fma_f32 v[142:143], v[158:159], v[46:47], v[142:143]  // 00000000422C: D3B0408E 1E3A5D9E
	s_add_u32 s60, 0x200, s80                                  // 000000004234: 803C50FF 00000200
	s_cmp_lt_u32 s60, s81                                      // 00000000423C: BF0A513C
	s_cselect_b32 s4, s4, 0                                    // 000000004240: 85048004
	s_add_u32 s32, s4, s32                                     // 000000004244: 80202004
	s_addc_u32 s33, 0, s33                                     // 000000004248: 82212180
	s_waitcnt vmcnt(0)                                         // 00000000424C: BF8C0F70
	s_barrier                                                  // 000000004250: BF8A0000
	v_mfma_f32_16x16x128_f8f6f4 v[144:147], a[192:199], v[176:183], 0// 000000004254: D3AD0090 0A0361C0
	v_mfma_f32_16x16x128_f8f6f4 v[148:151], a[200:207], v[176:183], 0// 00000000425C: D3AD0094 0A0361C8
	buffer_load_dwordx4 a[64:67], v33, s[92:95], 0 offen       // 000000004264: E05C1000 80974021
	buffer_load_dwordx4 a[68:71], v33, s[92:95], 0 offen offset:1024// 00000000426C: E05C1400 80974421
	buffer_load_dwordx4 a[72:75], v34, s[92:95], 0 offen       // 000000004274: E05C1000 80974822
	buffer_load_dwordx4 a[76:79], v34, s[92:95], 0 offen offset:1024// 00000000427C: E05C1400 80974C22
	s_waitcnt vmcnt(4)                                         // 000000004284: BF8C0F74
	v_mfma_f32_16x16x128_f8f6f4 v[152:155], a[208:215], v[176:183], 0// 000000004288: D3AD0098 0A0361D0
	v_mfma_f32_16x16x128_f8f6f4 v[156:159], a[216:223], v[176:183], 0// 000000004290: D3AD009C 0A0361D8
	buffer_load_dwordx4 a[80:83], v35, s[92:95], 0 offen       // 000000004298: E05C1000 80975023
	buffer_load_dwordx4 a[84:87], v35, s[92:95], 0 offen offset:1024// 0000000042A0: E05C1400 80975423
	buffer_load_dwordx4 a[88:91], v36, s[92:95], 0 offen       // 0000000042A8: E05C1000 80975824
	buffer_load_dwordx4 a[92:95], v36, s[92:95], 0 offen offset:1024// 0000000042B0: E05C1400 80975C24
	s_waitcnt vmcnt(8)                                         // 0000000042B8: BF8C0F78
	v_mov_b32_e32 v26, 0                                       // 0000000042BC: 7E340280
	v_lshlrev_b32_e32 v46, 16, v160                            // 0000000042C0: 245D4090
	v_and_b32_e32 v47, 0xffff0000, v160                        // 0000000042C4: 265F40FF FFFF0000
	v_max3_f32 v26, |v47|, |v46|, v26                          // 0000000042CC: D1D3031A 046A5D2F
	v_lshlrev_b32_e32 v46, 16, v161                            // 0000000042D4: 245D4290
	v_and_b32_e32 v47, 0xffff0000, v161                        // 0000000042D8: 265F42FF FFFF0000
	v_max3_f32 v26, |v47|, |v46|, v26                          // 0000000042E0: D1D3031A 046A5D2F
	v_lshlrev_b32_e32 v46, 16, v162                            // 0000000042E8: 245D4490
	v_and_b32_e32 v47, 0xffff0000, v162                        // 0000000042EC: 265F44FF FFFF0000
	v_max3_f32 v26, |v47|, |v46|, v26                          // 0000000042F4: D1D3031A 046A5D2F
	v_lshlrev_b32_e32 v46, 16, v163                            // 0000000042FC: 245D4690
	v_and_b32_e32 v47, 0xffff0000, v163                        // 000000004300: 265F46FF FFFF0000
	v_max3_f32 v26, |v47|, |v46|, v26                          // 000000004308: D1D3031A 046A5D2F
	v_lshlrev_b32_e32 v46, 16, v164                            // 000000004310: 245D4890
	v_and_b32_e32 v47, 0xffff0000, v164                        // 000000004314: 265F48FF FFFF0000
	v_max3_f32 v26, |v47|, |v46|, v26                          // 00000000431C: D1D3031A 046A5D2F
	v_lshlrev_b32_e32 v46, 16, v165                            // 000000004324: 245D4A90
	v_and_b32_e32 v47, 0xffff0000, v165                        // 000000004328: 265F4AFF FFFF0000
	v_max3_f32 v26, |v47|, |v46|, v26                          // 000000004330: D1D3031A 046A5D2F
	v_lshlrev_b32_e32 v46, 16, v166                            // 000000004338: 245D4C90
	v_and_b32_e32 v47, 0xffff0000, v166                        // 00000000433C: 265F4CFF FFFF0000
	v_max3_f32 v26, |v47|, |v46|, v26                          // 000000004344: D1D3031A 046A5D2F
	v_lshlrev_b32_e32 v46, 16, v167                            // 00000000434C: 245D4E90
	v_and_b32_e32 v47, 0xffff0000, v167                        // 000000004350: 265F4EFF FFFF0000
	v_max3_f32 v26, |v47|, |v46|, v26                          // 000000004358: D1D3031A 046A5D2F
	s_barrier                                                  // 000000004360: BF8A0000
	v_max_f32_dpp v27, v26, v26 quad_perm:[1,2,3,0] row_mask:0xf bank_mask:0xf// 000000004364: 163634FA FF00391A
	s_nop 1                                                    // 00000000436C: BF800001
	v_max_f32_dpp v46, v27, v27 quad_perm:[2,3,0,1] row_mask:0xf bank_mask:0xf// 000000004370: 165C36FA FF004E1B
	s_nop 1                                                    // 000000004378: BF800001
	v_max_f32_dpp v26, v46, v46 row_half_mirror row_mask:0xf bank_mask:0xf// 00000000437C: 16345CFA FF01412E
	v_rcp_f32_e32 v46, v26                                     // 000000004384: 7E5C451A
	v_mov_b32_e32 v47, 0x43e00000                              // 000000004388: 7E5E02FF 43E00000
	v_mul_f32_e32 v27, v47, v46                                // 000000004390: 0A365D2F
	v_mov_b32_e32 v26, v27                                     // 000000004394: 7E34031B
	v_lshlrev_b32_e32 v46, 16, v160                            // 000000004398: 245D4090
	v_and_b32_e32 v47, 0xffff0000, v160                        // 00000000439C: 265F40FF FFFF0000
	v_pk_mul_f32 v[46:47], v[46:47], v[26:27]                  // 0000000043A4: D3B1402E 1802352E
	v_cvt_pk_fp8_f32 v160, v46, v47                            // 0000000043AC: D2A200A0 00025F2E
	v_lshlrev_b32_e32 v46, 16, v161                            // 0000000043B4: 245D4290
	v_and_b32_e32 v47, 0xffff0000, v161                        // 0000000043B8: 265F42FF FFFF0000
	v_pk_mul_f32 v[46:47], v[46:47], v[26:27]                  // 0000000043C0: D3B1402E 1802352E
	v_cvt_pk_fp8_f32 v160, v46, v47 op_sel:[0,0,1]             // 0000000043C8: D2A240A0 00025F2E
	v_lshlrev_b32_e32 v46, 16, v162                            // 0000000043D0: 245D4490
	v_and_b32_e32 v47, 0xffff0000, v162                        // 0000000043D4: 265F44FF FFFF0000
	v_pk_mul_f32 v[46:47], v[46:47], v[26:27]                  // 0000000043DC: D3B1402E 1802352E
	v_cvt_pk_fp8_f32 v161, v46, v47                            // 0000000043E4: D2A200A1 00025F2E
	v_lshlrev_b32_e32 v46, 16, v163                            // 0000000043EC: 245D4690
	v_and_b32_e32 v47, 0xffff0000, v163                        // 0000000043F0: 265F46FF FFFF0000
	v_pk_mul_f32 v[46:47], v[46:47], v[26:27]                  // 0000000043F8: D3B1402E 1802352E
	v_cvt_pk_fp8_f32 v161, v46, v47 op_sel:[0,0,1]             // 000000004400: D2A240A1 00025F2E
	v_lshlrev_b32_e32 v46, 16, v164                            // 000000004408: 245D4890
	v_and_b32_e32 v47, 0xffff0000, v164                        // 00000000440C: 265F48FF FFFF0000
	v_pk_mul_f32 v[46:47], v[46:47], v[26:27]                  // 000000004414: D3B1402E 1802352E
	v_cvt_pk_fp8_f32 v162, v46, v47                            // 00000000441C: D2A200A2 00025F2E
	v_lshlrev_b32_e32 v46, 16, v165                            // 000000004424: 245D4A90
	v_and_b32_e32 v47, 0xffff0000, v165                        // 000000004428: 265F4AFF FFFF0000
	v_pk_mul_f32 v[46:47], v[46:47], v[26:27]                  // 000000004430: D3B1402E 1802352E
	v_cvt_pk_fp8_f32 v162, v46, v47 op_sel:[0,0,1]             // 000000004438: D2A240A2 00025F2E
	v_lshlrev_b32_e32 v46, 16, v166                            // 000000004440: 245D4C90
	v_and_b32_e32 v47, 0xffff0000, v166                        // 000000004444: 265F4CFF FFFF0000
	v_pk_mul_f32 v[46:47], v[46:47], v[26:27]                  // 00000000444C: D3B1402E 1802352E
	v_cvt_pk_fp8_f32 v163, v46, v47                            // 000000004454: D2A200A3 00025F2E
	v_lshlrev_b32_e32 v46, 16, v167                            // 00000000445C: 245D4E90
	v_and_b32_e32 v47, 0xffff0000, v167                        // 000000004460: 265F4EFF FFFF0000
	v_pk_mul_f32 v[46:47], v[46:47], v[26:27]                  // 000000004468: D3B1402E 1802352E
	v_cvt_pk_fp8_f32 v163, v46, v47 op_sel:[0,0,1]             // 000000004470: D2A240A3 00025F2E
	v_lshlrev_b32_e32 v46, 4, v0                               // 000000004478: 245C0084
	v_add_u32_e64 v46, v46, s50                                // 00000000447C: D134002E 0000652E
	ds_write_b128 v46, v[160:163]                              // 000000004484: D9BE0000 0000A02E
	v_rcp_f32_e32 v28, v27                                     // 00000000448C: 7E38451B
	v_add_u32_e32 v46, 0, v30                                  // 000000004490: 685C3C80
	s_mov_b64 s[60:61], exec                                   // 000000004494: BEBC017E
	s_mov_b32 s62, 0xf0f0f0f                                   // 000000004498: BEBE00FF 0F0F0F0F
	s_mov_b32 s63, 0xf0f0f0f                                   // 0000000044A0: BEBF00FF 0F0F0F0F
	s_mov_b64 exec, s[62:63]                                   // 0000000044A8: BEFE013E
	ds_write_b32 v46, v28 offset:4352                          // 0000000044AC: D81A1100 00001C2E
	s_mov_b64 exec, s[60:61]                                   // 0000000044B4: BEFE013C
	v_mul_f32_dpp v46, v22, v17 row_newbcast:0 row_mask:0xf bank_mask:0xf// 0000000044B8: 0A5C22FA FF015016
	v_mov_b32_e32 v47, v46                                     // 0000000044C0: 7E5E032E
	v_pk_fma_f32 v[64:65], v[144:145], v[46:47], v[64:65]      // 0000000044C4: D3B04040 1D025D90
	v_pk_fma_f32 v[66:67], v[146:147], v[46:47], v[66:67]      // 0000000044CC: D3B04042 1D0A5D92
	v_pk_fma_f32 v[68:69], v[148:149], v[46:47], v[68:69]      // 0000000044D4: D3B04044 1D125D94
	v_pk_fma_f32 v[70:71], v[150:151], v[46:47], v[70:71]      // 0000000044DC: D3B04046 1D1A5D96
	v_mul_f32_dpp v46, v22, v17 row_newbcast:1 row_mask:0xf bank_mask:0xf// 0000000044E4: 0A5C22FA FF015116
	v_mov_b32_e32 v47, v46                                     // 0000000044EC: 7E5E032E
	v_pk_fma_f32 v[72:73], v[152:153], v[46:47], v[72:73]      // 0000000044F0: D3B04048 1D225D98
	v_pk_fma_f32 v[74:75], v[154:155], v[46:47], v[74:75]      // 0000000044F8: D3B0404A 1D2A5D9A
	v_pk_fma_f32 v[76:77], v[156:157], v[46:47], v[76:77]      // 000000004500: D3B0404C 1D325D9C
	v_pk_fma_f32 v[78:79], v[158:159], v[46:47], v[78:79]      // 000000004508: D3B0404E 1D3A5D9E
	s_waitcnt vmcnt(4)                                         // 000000004510: BF8C0F74
	v_mfma_f32_16x16x128_f8f6f4 v[144:147], a[224:231], v[184:191], 0// 000000004514: D3AD0090 0A0371E0
	s_waitcnt lgkmcnt(0)                                       // 00000000451C: BF8CC07F
	s_barrier                                                  // 000000004520: BF8A0000
	ds_read_b128 v[160:163], v2                                // 000000004524: D9FE0000 A0000002
	ds_read_b128 v[164:167], v2 offset:64                      // 00000000452C: D9FE0040 A4000002
	ds_read_b32 v15, v3 offset:4352                            // 000000004534: D86C1100 0F000003
	v_mfma_f32_16x16x128_f8f6f4 v[148:151], a[232:239], v[184:191], 0// 00000000453C: D3AD0094 0A0371E8
	buffer_load_dwordx4 a[96:99], v33, s[92:95], 0 offen offset:2048// 000000004544: E05C1800 80976021
	buffer_load_dwordx4 a[100:103], v33, s[92:95], 0 offen offset:3072// 00000000454C: E05C1C00 80976421
	buffer_load_dwordx4 a[104:107], v34, s[92:95], 0 offen offset:2048// 000000004554: E05C1800 80976822
	buffer_load_dwordx4 a[108:111], v34, s[92:95], 0 offen offset:3072// 00000000455C: E05C1C00 80976C22
	s_waitcnt vmcnt(4)                                         // 000000004564: BF8C0F74
	v_mfma_f32_16x16x128_f8f6f4 v[152:155], a[240:247], v[184:191], 0// 000000004568: D3AD0098 0A0371F0
	ds_read_b128 v[168:171], v2 offset:512                     // 000000004570: D9FE0200 A8000002
	ds_read_b128 v[172:175], v2 offset:576                     // 000000004578: D9FE0240 AC000002
	ds_read_b32 v16, v3 offset:4608                            // 000000004580: D86C1200 10000003
	v_mfma_f32_16x16x128_f8f6f4 v[156:159], a[248:255], v[184:191], 0// 000000004588: D3AD009C 0A0371F8
	buffer_load_dwordx4 a[112:115], v35, s[92:95], 0 offen offset:2048// 000000004590: E05C1800 80977023
	buffer_load_dwordx4 a[116:119], v35, s[92:95], 0 offen offset:3072// 000000004598: E05C1C00 80977423
	buffer_load_dwordx4 a[120:123], v36, s[92:95], 0 offen offset:2048// 0000000045A0: E05C1800 80977824
	buffer_load_dwordx4 a[124:127], v36, s[92:95], 0 offen offset:3072// 0000000045A8: E05C1C00 80977C24
	v_mul_f32_dpp v46, v22, v18 row_newbcast:2 row_mask:0xf bank_mask:0xf// 0000000045B0: 0A5C24FA FF015216
	v_mov_b32_e32 v47, v46                                     // 0000000045B8: 7E5E032E
	v_pk_fma_f32 v[64:65], v[144:145], v[46:47], v[64:65]      // 0000000045BC: D3B04040 1D025D90
	v_pk_fma_f32 v[66:67], v[146:147], v[46:47], v[66:67]      // 0000000045C4: D3B04042 1D0A5D92
	v_pk_fma_f32 v[68:69], v[148:149], v[46:47], v[68:69]      // 0000000045CC: D3B04044 1D125D94
	v_pk_fma_f32 v[70:71], v[150:151], v[46:47], v[70:71]      // 0000000045D4: D3B04046 1D1A5D96
	v_mul_f32_dpp v46, v22, v18 row_newbcast:3 row_mask:0xf bank_mask:0xf// 0000000045DC: 0A5C24FA FF015316
	v_mov_b32_e32 v47, v46                                     // 0000000045E4: 7E5E032E
	v_pk_fma_f32 v[72:73], v[152:153], v[46:47], v[72:73]      // 0000000045E8: D3B04048 1D225D98
	v_pk_fma_f32 v[74:75], v[154:155], v[46:47], v[74:75]      // 0000000045F0: D3B0404A 1D2A5D9A
	v_pk_fma_f32 v[76:77], v[156:157], v[46:47], v[76:77]      // 0000000045F8: D3B0404C 1D325D9C
	v_pk_fma_f32 v[78:79], v[158:159], v[46:47], v[78:79]      // 000000004600: D3B0404E 1D3A5D9E
	s_add_u32 s60, 0x200, s80                                  // 000000004608: 803C50FF 00000200
	s_cmp_lt_u32 s60, s81                                      // 000000004610: BF0A513C
	s_cselect_b32 s57, s57, 0                                  // 000000004614: 85398039
	s_add_u32 s60, 0x200, s80                                  // 000000004618: 803C50FF 00000200
	s_cmp_lt_u32 s60, s81                                      // 000000004620: BF0A513C
	s_cselect_b32 s58, s58, 0                                  // 000000004624: 853A803A
	s_cselect_b32 s90, s90, 0                                  // 000000004628: 855A805A
	s_add_u32 s20, s57, s20                                    // 00000000462C: 80141439
	s_addc_u32 s21, 0, s21                                     // 000000004630: 82151580
	s_add_u32 s24, s58, s24                                    // 000000004634: 8018183A
	s_addc_u32 s25, 0, s25                                     // 000000004638: 82191980
	s_add_u32 s92, s90, s92                                    // 00000000463C: 805C5C5A
	s_addc_u32 s93, 0, s93                                     // 000000004640: 825D5D80
	s_addk_i32 s80, 0x100                                      // 000000004644: B7500100
	s_cmp_lt_i32 s80, s81                                      // 000000004648: BF045150
	s_cbranch_scc0 label_0615                                  // 00000000464C: BF840001
	s_branch label_0334                                        // 000000004650: BF82FD1F

0000000000004654 <label_0615>:
	s_mov_b32 s20, 0                                           // 000000004654: BE940080
	s_cmp_lt_u32 s89, s66                                      // 000000004658: BF0A4259
	s_cselect_b32 s60, 0, 1                                    // 00000000465C: 853C8180
	s_lshl1_add_u32 s20, s20, s60                              // 000000004660: 97143C14
	s_cmp_lt_u32 s88, s66                                      // 000000004664: BF0A4258
	s_cselect_b32 s60, 0, 1                                    // 000000004668: 853C8180
	s_lshl1_add_u32 s20, s20, s60                              // 00000000466C: 97143C14
	s_cmp_lt_u32 s87, s66                                      // 000000004670: BF0A4257
	s_cselect_b32 s60, 0, 1                                    // 000000004674: 853C8180
	s_lshl1_add_u32 s20, s20, s60                              // 000000004678: 97143C14
	s_cmp_lt_u32 s86, s66                                      // 00000000467C: BF0A4256
	s_cselect_b32 s60, 0, 1                                    // 000000004680: 853C8180
	s_lshl1_add_u32 s20, s20, s60                              // 000000004684: 97143C14
	s_cmp_lt_u32 s85, s66                                      // 000000004688: BF0A4255
	s_cselect_b32 s60, 0, 1                                    // 00000000468C: 853C8180
	s_lshl1_add_u32 s20, s20, s60                              // 000000004690: 97143C14
	s_cmp_lt_u32 s84, s66                                      // 000000004694: BF0A4254
	s_cselect_b32 s60, 0, 1                                    // 000000004698: 853C8180
	s_lshl1_add_u32 s20, s20, s60                              // 00000000469C: 97143C14
	s_cmp_lt_u32 s83, s66                                      // 0000000046A0: BF0A4253
	s_cselect_b32 s60, 0, 1                                    // 0000000046A4: 853C8180
	s_lshl1_add_u32 s20, s20, s60                              // 0000000046A8: 97143C14
	s_cmp_lt_u32 s82, s66                                      // 0000000046AC: BF0A4252
	s_cselect_b32 s60, 0, 1                                    // 0000000046B0: 853C8180
	s_lshl1_add_u32 s20, s20, s60                              // 0000000046B4: 97143C14
	s_waitcnt vmcnt(12)                                        // 0000000046B8: BF8C0F7C
	buffer_load_dword v19, v6, s[16:19], 0 offen               // 0000000046BC: E0501000 80041306
	s_add_u32 s16, s79, s16                                    // 0000000046C4: 8010104F
	s_addc_u32 s17, 0, s17                                     // 0000000046C8: 82111180
	buffer_load_dwordx4 a[0:3], v37, s[12:15], 0 offen         // 0000000046CC: E05C1000 80830025
	buffer_load_dwordx4 a[4:7], v37, s[12:15], 0 offen offset:1024// 0000000046D4: E05C1400 80830425
	buffer_load_dwordx4 a[8:11], v38, s[12:15], 0 offen        // 0000000046DC: E05C1000 80830826
	buffer_load_dwordx4 a[12:15], v38, s[12:15], 0 offen offset:1024// 0000000046E4: E05C1400 80830C26
	v_mul_f32_e32 v46, v128, v128                              // 0000000046EC: 0A5D0180
	v_mul_f32_e32 v47, v129, v129                              // 0000000046F0: 0A5F0381
	v_mul_f32_e32 v48, v130, v130                              // 0000000046F4: 0A610582
	v_mul_f32_e32 v49, v131, v131                              // 0000000046F8: 0A630783
	v_fma_f32 v46, v46, s77, v1                                // 0000000046FC: D1CB002E 04049B2E
	v_fma_f32 v47, v47, s77, v1                                // 000000004704: D1CB002F 04049B2F
	v_fma_f32 v48, v48, s77, v1                                // 00000000470C: D1CB0030 04049B30
	v_fma_f32 v49, v49, s77, v1                                // 000000004714: D1CB0031 04049B31
	v_mul_f32_e32 v46, v46, v128                               // 00000000471C: 0A5D012E
	v_mul_f32_e32 v47, v47, v129                               // 000000004720: 0A5F032F
	v_mul_f32_e32 v48, v48, v130                               // 000000004724: 0A610530
	v_mul_f32_e32 v49, v49, v131                               // 000000004728: 0A630731
	v_mul_f32_e64 v46, v46, s6                                 // 00000000472C: D105002E 00000D2E
	v_mul_f32_e64 v47, v47, s6                                 // 000000004734: D105002F 00000D2F
	v_mul_f32_e64 v48, v48, s6                                 // 00000000473C: D1050030 00000D30
	v_mul_f32_e64 v49, v49, s6                                 // 000000004744: D1050031 00000D31
	v_exp_f32_e32 v46, v46                                     // 00000000474C: 7E5C412E
	v_exp_f32_e32 v47, v47                                     // 000000004750: 7E5E412F
	v_exp_f32_e32 v48, v48                                     // 000000004754: 7E604130
	v_exp_f32_e32 v49, v49                                     // 000000004758: 7E624131
	buffer_load_dwordx4 a[16:19], v39, s[12:15], 0 offen       // 00000000475C: E05C1000 80831027
	buffer_load_dwordx4 a[20:23], v39, s[12:15], 0 offen offset:1024// 000000004764: E05C1400 80831427
	buffer_load_dwordx4 a[24:27], v40, s[12:15], 0 offen       // 00000000476C: E05C1000 80831828
	buffer_load_dwordx4 a[28:31], v40, s[12:15], 0 offen offset:1024// 000000004774: E05C1400 80831C28
	s_add_u32 s12, s78, s12                                    // 00000000477C: 800C0C4E
	s_addc_u32 s13, 0, s13                                     // 000000004780: 820D0D80
	v_add_f32_e64 v46, v46, 1.0                                // 000000004784: D101002E 0001E52E
	v_add_f32_e64 v47, v47, 1.0                                // 00000000478C: D101002F 0001E52F
	v_add_f32_e64 v48, v48, 1.0                                // 000000004794: D1010030 0001E530
	v_add_f32_e64 v49, v49, 1.0                                // 00000000479C: D1010031 0001E531
	v_rcp_f32_e32 v46, v46                                     // 0000000047A4: 7E5C452E
	v_rcp_f32_e32 v47, v47                                     // 0000000047A8: 7E5E452F
	v_rcp_f32_e32 v48, v48                                     // 0000000047AC: 7E604530
	v_rcp_f32_e32 v49, v49                                     // 0000000047B0: 7E624531
	v_mul_f32_e32 v128, v128, v46                              // 0000000047B4: 0B005D80
	v_mul_f32_e32 v129, v129, v47                              // 0000000047B8: 0B025F81
	v_mul_f32_e32 v130, v130, v48                              // 0000000047BC: 0B046182
	v_mul_f32_e32 v131, v131, v49                              // 0000000047C0: 0B066383
	v_mul_f32_e32 v128, v128, v64                              // 0000000047C4: 0B008180
	v_mul_f32_e32 v129, v129, v65                              // 0000000047C8: 0B028381
	v_mul_f32_e32 v130, v130, v66                              // 0000000047CC: 0B048582
	v_mul_f32_e32 v131, v131, v67                              // 0000000047D0: 0B068783
	s_waitcnt vmcnt(12)                                        // 0000000047D4: BF8C0F7C
	buffer_load_dwordx4 a[32:35], v37, s[12:15], 0 offen       // 0000000047D8: E05C1000 80832025
	buffer_load_dwordx4 a[36:39], v37, s[12:15], 0 offen offset:1024// 0000000047E0: E05C1400 80832425
	buffer_load_dwordx4 a[40:43], v38, s[12:15], 0 offen       // 0000000047E8: E05C1000 80832826
	buffer_load_dwordx4 a[44:47], v38, s[12:15], 0 offen offset:1024// 0000000047F0: E05C1400 80832C26
	v_mul_f32_e32 v46, v132, v132                              // 0000000047F8: 0A5D0984
	v_mul_f32_e32 v47, v133, v133                              // 0000000047FC: 0A5F0B85
	v_mul_f32_e32 v48, v134, v134                              // 000000004800: 0A610D86
	v_mul_f32_e32 v49, v135, v135                              // 000000004804: 0A630F87
	v_fma_f32 v46, v46, s77, v1                                // 000000004808: D1CB002E 04049B2E
	v_fma_f32 v47, v47, s77, v1                                // 000000004810: D1CB002F 04049B2F
	v_fma_f32 v48, v48, s77, v1                                // 000000004818: D1CB0030 04049B30
	v_fma_f32 v49, v49, s77, v1                                // 000000004820: D1CB0031 04049B31
	v_mul_f32_e32 v46, v46, v132                               // 000000004828: 0A5D092E
	v_mul_f32_e32 v47, v47, v133                               // 00000000482C: 0A5F0B2F
	v_mul_f32_e32 v48, v48, v134                               // 000000004830: 0A610D30
	v_mul_f32_e32 v49, v49, v135                               // 000000004834: 0A630F31
	v_mul_f32_e64 v46, v46, s6                                 // 000000004838: D105002E 00000D2E
	v_mul_f32_e64 v47, v47, s6                                 // 000000004840: D105002F 00000D2F
	v_mul_f32_e64 v48, v48, s6                                 // 000000004848: D1050030 00000D30
	v_mul_f32_e64 v49, v49, s6                                 // 000000004850: D1050031 00000D31
	v_exp_f32_e32 v46, v46                                     // 000000004858: 7E5C412E
	v_exp_f32_e32 v47, v47                                     // 00000000485C: 7E5E412F
	v_exp_f32_e32 v48, v48                                     // 000000004860: 7E604130
	v_exp_f32_e32 v49, v49                                     // 000000004864: 7E624131
	buffer_load_dwordx4 a[48:51], v39, s[12:15], 0 offen       // 000000004868: E05C1000 80833027
	buffer_load_dwordx4 a[52:55], v39, s[12:15], 0 offen offset:1024// 000000004870: E05C1400 80833427
	buffer_load_dwordx4 a[56:59], v40, s[12:15], 0 offen       // 000000004878: E05C1000 80833828
	buffer_load_dwordx4 a[60:63], v40, s[12:15], 0 offen offset:1024// 000000004880: E05C1400 80833C28
	s_add_u32 s12, s56, s12                                    // 000000004888: 800C0C38
	s_addc_u32 s13, 0, s13                                     // 00000000488C: 820D0D80
	v_add_f32_e64 v46, v46, 1.0                                // 000000004890: D101002E 0001E52E
	v_add_f32_e64 v47, v47, 1.0                                // 000000004898: D101002F 0001E52F
	v_add_f32_e64 v48, v48, 1.0                                // 0000000048A0: D1010030 0001E530
	v_add_f32_e64 v49, v49, 1.0                                // 0000000048A8: D1010031 0001E531
	v_rcp_f32_e32 v46, v46                                     // 0000000048B0: 7E5C452E
	v_rcp_f32_e32 v47, v47                                     // 0000000048B4: 7E5E452F
	v_rcp_f32_e32 v48, v48                                     // 0000000048B8: 7E604530
	v_rcp_f32_e32 v49, v49                                     // 0000000048BC: 7E624531
	v_mul_f32_e32 v132, v132, v46                              // 0000000048C0: 0B085D84
	v_mul_f32_e32 v133, v133, v47                              // 0000000048C4: 0B0A5F85
	v_mul_f32_e32 v134, v134, v48                              // 0000000048C8: 0B0C6186
	v_mul_f32_e32 v135, v135, v49                              // 0000000048CC: 0B0E6387
	v_mul_f32_e32 v132, v132, v68                              // 0000000048D0: 0B088984
	v_mul_f32_e32 v133, v133, v69                              // 0000000048D4: 0B0A8B85
	v_mul_f32_e32 v134, v134, v70                              // 0000000048D8: 0B0C8D86
	v_mul_f32_e32 v135, v135, v71                              // 0000000048DC: 0B0E8F87
	s_waitcnt vmcnt(12)                                        // 0000000048E0: BF8C0F7C
	buffer_load_dword v20, v6, s[16:19], 0 offen               // 0000000048E4: E0501000 80041406
	s_add_u32 s16, s79, s16                                    // 0000000048EC: 8010104F
	s_addc_u32 s17, 0, s17                                     // 0000000048F0: 82111180
	buffer_load_dwordx4 a[64:67], v37, s[12:15], 0 offen       // 0000000048F4: E05C1000 80834025
	buffer_load_dwordx4 a[68:71], v37, s[12:15], 0 offen offset:1024// 0000000048FC: E05C1400 80834425
	buffer_load_dwordx4 a[72:75], v38, s[12:15], 0 offen       // 000000004904: E05C1000 80834826
	buffer_load_dwordx4 a[76:79], v38, s[12:15], 0 offen offset:1024// 00000000490C: E05C1400 80834C26
	v_mul_f32_e32 v46, v136, v136                              // 000000004914: 0A5D1188
	v_mul_f32_e32 v47, v137, v137                              // 000000004918: 0A5F1389
	v_mul_f32_e32 v48, v138, v138                              // 00000000491C: 0A61158A
	v_mul_f32_e32 v49, v139, v139                              // 000000004920: 0A63178B
	v_fma_f32 v46, v46, s77, v1                                // 000000004924: D1CB002E 04049B2E
	v_fma_f32 v47, v47, s77, v1                                // 00000000492C: D1CB002F 04049B2F
	v_fma_f32 v48, v48, s77, v1                                // 000000004934: D1CB0030 04049B30
	v_fma_f32 v49, v49, s77, v1                                // 00000000493C: D1CB0031 04049B31
	v_mul_f32_e32 v46, v46, v136                               // 000000004944: 0A5D112E
	v_mul_f32_e32 v47, v47, v137                               // 000000004948: 0A5F132F
	v_mul_f32_e32 v48, v48, v138                               // 00000000494C: 0A611530
	v_mul_f32_e32 v49, v49, v139                               // 000000004950: 0A631731
	v_mul_f32_e64 v46, v46, s6                                 // 000000004954: D105002E 00000D2E
	v_mul_f32_e64 v47, v47, s6                                 // 00000000495C: D105002F 00000D2F
	v_mul_f32_e64 v48, v48, s6                                 // 000000004964: D1050030 00000D30
	v_mul_f32_e64 v49, v49, s6                                 // 00000000496C: D1050031 00000D31
	v_exp_f32_e32 v46, v46                                     // 000000004974: 7E5C412E
	v_exp_f32_e32 v47, v47                                     // 000000004978: 7E5E412F
	v_exp_f32_e32 v48, v48                                     // 00000000497C: 7E604130
	v_exp_f32_e32 v49, v49                                     // 000000004980: 7E624131
	buffer_load_dwordx4 a[80:83], v39, s[12:15], 0 offen       // 000000004984: E05C1000 80835027
	buffer_load_dwordx4 a[84:87], v39, s[12:15], 0 offen offset:1024// 00000000498C: E05C1400 80835427
	buffer_load_dwordx4 a[88:91], v40, s[12:15], 0 offen       // 000000004994: E05C1000 80835828
	buffer_load_dwordx4 a[92:95], v40, s[12:15], 0 offen offset:1024// 00000000499C: E05C1400 80835C28
	s_add_u32 s12, s78, s12                                    // 0000000049A4: 800C0C4E
	s_addc_u32 s13, 0, s13                                     // 0000000049A8: 820D0D80
	v_add_f32_e64 v46, v46, 1.0                                // 0000000049AC: D101002E 0001E52E
	v_add_f32_e64 v47, v47, 1.0                                // 0000000049B4: D101002F 0001E52F
	v_add_f32_e64 v48, v48, 1.0                                // 0000000049BC: D1010030 0001E530
	v_add_f32_e64 v49, v49, 1.0                                // 0000000049C4: D1010031 0001E531
	v_rcp_f32_e32 v46, v46                                     // 0000000049CC: 7E5C452E
	v_rcp_f32_e32 v47, v47                                     // 0000000049D0: 7E5E452F
	v_rcp_f32_e32 v48, v48                                     // 0000000049D4: 7E604530
	v_rcp_f32_e32 v49, v49                                     // 0000000049D8: 7E624531
	v_mul_f32_e32 v136, v136, v46                              // 0000000049DC: 0B105D88
	v_mul_f32_e32 v137, v137, v47                              // 0000000049E0: 0B125F89
	v_mul_f32_e32 v138, v138, v48                              // 0000000049E4: 0B14618A
	v_mul_f32_e32 v139, v139, v49                              // 0000000049E8: 0B16638B
	v_mul_f32_e32 v136, v136, v72                              // 0000000049EC: 0B109188
	v_mul_f32_e32 v137, v137, v73                              // 0000000049F0: 0B129389
	v_mul_f32_e32 v138, v138, v74                              // 0000000049F4: 0B14958A
	v_mul_f32_e32 v139, v139, v75                              // 0000000049F8: 0B16978B
	s_waitcnt vmcnt(12)                                        // 0000000049FC: BF8C0F7C
	buffer_load_dwordx4 a[96:99], v37, s[12:15], 0 offen       // 000000004A00: E05C1000 80836025
	buffer_load_dwordx4 a[100:103], v37, s[12:15], 0 offen offset:1024// 000000004A08: E05C1400 80836425
	buffer_load_dwordx4 a[104:107], v38, s[12:15], 0 offen     // 000000004A10: E05C1000 80836826
	buffer_load_dwordx4 a[108:111], v38, s[12:15], 0 offen offset:1024// 000000004A18: E05C1400 80836C26
	v_mul_f32_e32 v46, v140, v140                              // 000000004A20: 0A5D198C
	v_mul_f32_e32 v47, v141, v141                              // 000000004A24: 0A5F1B8D
	v_mul_f32_e32 v48, v142, v142                              // 000000004A28: 0A611D8E
	v_mul_f32_e32 v49, v143, v143                              // 000000004A2C: 0A631F8F
	v_fma_f32 v46, v46, s77, v1                                // 000000004A30: D1CB002E 04049B2E
	v_fma_f32 v47, v47, s77, v1                                // 000000004A38: D1CB002F 04049B2F
	v_fma_f32 v48, v48, s77, v1                                // 000000004A40: D1CB0030 04049B30
	v_fma_f32 v49, v49, s77, v1                                // 000000004A48: D1CB0031 04049B31
	v_mul_f32_e32 v46, v46, v140                               // 000000004A50: 0A5D192E
	v_mul_f32_e32 v47, v47, v141                               // 000000004A54: 0A5F1B2F
	v_mul_f32_e32 v48, v48, v142                               // 000000004A58: 0A611D30
	v_mul_f32_e32 v49, v49, v143                               // 000000004A5C: 0A631F31
	v_mul_f32_e64 v46, v46, s6                                 // 000000004A60: D105002E 00000D2E
	v_mul_f32_e64 v47, v47, s6                                 // 000000004A68: D105002F 00000D2F
	v_mul_f32_e64 v48, v48, s6                                 // 000000004A70: D1050030 00000D30
	v_mul_f32_e64 v49, v49, s6                                 // 000000004A78: D1050031 00000D31
	v_exp_f32_e32 v46, v46                                     // 000000004A80: 7E5C412E
	v_exp_f32_e32 v47, v47                                     // 000000004A84: 7E5E412F
	v_exp_f32_e32 v48, v48                                     // 000000004A88: 7E604130
	v_exp_f32_e32 v49, v49                                     // 000000004A8C: 7E624131
	buffer_load_dwordx4 a[112:115], v39, s[12:15], 0 offen     // 000000004A90: E05C1000 80837027
	buffer_load_dwordx4 a[116:119], v39, s[12:15], 0 offen offset:1024// 000000004A98: E05C1400 80837427
	buffer_load_dwordx4 a[120:123], v40, s[12:15], 0 offen     // 000000004AA0: E05C1000 80837828
	buffer_load_dwordx4 a[124:127], v40, s[12:15], 0 offen offset:1024// 000000004AA8: E05C1400 80837C28
	s_add_u32 s12, s56, s12                                    // 000000004AB0: 800C0C38
	s_addc_u32 s13, 0, s13                                     // 000000004AB4: 820D0D80
	v_add_f32_e64 v46, v46, 1.0                                // 000000004AB8: D101002E 0001E52E
	v_add_f32_e64 v47, v47, 1.0                                // 000000004AC0: D101002F 0001E52F
	v_add_f32_e64 v48, v48, 1.0                                // 000000004AC8: D1010030 0001E530
	v_add_f32_e64 v49, v49, 1.0                                // 000000004AD0: D1010031 0001E531
	v_rcp_f32_e32 v46, v46                                     // 000000004AD8: 7E5C452E
	v_rcp_f32_e32 v47, v47                                     // 000000004ADC: 7E5E452F
	v_rcp_f32_e32 v48, v48                                     // 000000004AE0: 7E604530
	v_rcp_f32_e32 v49, v49                                     // 000000004AE4: 7E624531
	v_mul_f32_e32 v140, v140, v46                              // 000000004AE8: 0B185D8C
	v_mul_f32_e32 v141, v141, v47                              // 000000004AEC: 0B1A5F8D
	v_mul_f32_e32 v142, v142, v48                              // 000000004AF0: 0B1C618E
	v_mul_f32_e32 v143, v143, v49                              // 000000004AF4: 0B1E638F
	v_mul_f32_e32 v140, v140, v76                              // 000000004AF8: 0B18998C
	v_mul_f32_e32 v141, v141, v77                              // 000000004AFC: 0B1A9B8D
	v_mul_f32_e32 v142, v142, v78                              // 000000004B00: 0B1C9D8E
	v_mul_f32_e32 v143, v143, v79                              // 000000004B04: 0B1E9F8F
	v_lshlrev_b32_e32 v46, 2, v0                               // 000000004B08: 245C0082
	s_mul_i32 s60, s82, s71                                    // 000000004B0C: 923C4752
	v_add_u32_e64 v80, v46, s60                                // 000000004B10: D1340050 0000792E
	v_mov_b32_e32 v81, 0                                       // 000000004B18: 7EA20280
	s_mul_i32 s60, s83, s71                                    // 000000004B1C: 923C4753
	v_add_u32_e64 v82, v46, s60                                // 000000004B20: D1340052 0000792E
	v_mov_b32_e32 v83, 0                                       // 000000004B28: 7EA60280
	s_mul_i32 s60, s84, s71                                    // 000000004B2C: 923C4754
	v_add_u32_e64 v84, v46, s60                                // 000000004B30: D1340054 0000792E
	v_mov_b32_e32 v85, 0                                       // 000000004B38: 7EAA0280
	s_mul_i32 s60, s85, s71                                    // 000000004B3C: 923C4755
	v_add_u32_e64 v86, v46, s60                                // 000000004B40: D1340056 0000792E
	v_mov_b32_e32 v87, 0                                       // 000000004B48: 7EAE0280
	v_mov_b32_e32 v26, 0x358637bd                              // 000000004B4C: 7E3402FF 358637BD
	v_max3_f32 v26, |v128|, |v129|, v26                        // 000000004B54: D1D3031A 046B0380
	v_max3_f32 v26, |v130|, |v131|, v26                        // 000000004B5C: D1D3031A 046B0782
	v_max3_f32 v26, |v132|, |v133|, v26                        // 000000004B64: D1D3031A 046B0B84
	v_max3_f32 v26, |v134|, |v135|, v26                        // 000000004B6C: D1D3031A 046B0F86
	v_mov_b32_e32 v46, v26                                     // 000000004B74: 7E5C031A
	s_nop 1                                                    // 000000004B78: BF800001
	v_permlane32_swap_b32_e32 v46, v26                         // 000000004B7C: 7E5CB51A
	v_max_f32_e32 v26, v46, v26                                // 000000004B80: 1634352E
	v_mov_b32_e32 v46, v26                                     // 000000004B84: 7E5C031A
	s_nop 1                                                    // 000000004B88: BF800001
	v_permlane16_swap_b32_e32 v46, v26                         // 000000004B8C: 7E5CB31A
	v_max_f32_e32 v26, v46, v26                                // 000000004B90: 1634352E
	v_lshlrev_b32_e32 v46, 2, v0                               // 000000004B94: 245C0082
	s_mul_i32 s60, 64, s7                                      // 000000004B98: 923C07C0
	v_add_u32_e32 v46, s60, v46                                // 000000004B9C: 685C5C3C
	s_mov_b32 s60, 0xffff                                      // 000000004BA0: BEBC00FF 0000FFFF
	s_mov_b32 s61, 0                                           // 000000004BA8: BEBD0080
	s_mov_b64 exec, s[60:61]                                   // 000000004BAC: BEFE013C
	ds_write_b32 v46, v26 offset:10752                         // 000000004BB0: D81A2A00 00001A2E
	s_mov_b32 s60, -1                                          // 000000004BB8: BEBC00C1
	s_mov_b32 s61, -1                                          // 000000004BBC: BEBD00C1
	s_mov_b64 exec, s[60:61]                                   // 000000004BC0: BEFE013C
	s_waitcnt lgkmcnt(0)                                       // 000000004BC4: BF8CC07F
	s_barrier                                                  // 000000004BC8: BF8A0000
	v_lshlrev_b32_e32 v46, 2, v0                               // 000000004BCC: 245C0082
	ds_read_b32 v144, v46 offset:10752                         // 000000004BD0: D86C2A00 9000002E
	s_waitcnt lgkmcnt(0)                                       // 000000004BD8: BF8CC07F
	v_mov_b32_e32 v46, v144                                    // 000000004BDC: 7E5C0390
	s_nop 1                                                    // 000000004BE0: BF800001
	v_permlane32_swap_b32_e32 v46, v144                        // 000000004BE4: 7E5CB590
	v_max_f32_e32 v144, v46, v144                              // 000000004BE8: 1721212E
	v_mov_b32_e32 v46, v144                                    // 000000004BEC: 7E5C0390
	s_nop 1                                                    // 000000004BF0: BF800001
	v_permlane16_swap_b32_e32 v46, v144                        // 000000004BF4: 7E5CB390
	v_max_f32_e32 v144, v46, v144                              // 000000004BF8: 1721212E
	v_max_f32_e32 v26, v144, v26                               // 000000004BFC: 16343590
	v_rcp_f32_e32 v26, v26                                     // 000000004C00: 7E34451A
	v_mov_b32_e32 v46, 0x43e00000                              // 000000004C04: 7E5C02FF 43E00000
	v_mul_f32_e32 v26, v46, v26                                // 000000004C0C: 0A34352E
	v_mul_f32_e32 v128, v26, v128                              // 000000004C10: 0B01011A
	v_mul_f32_e32 v129, v26, v129                              // 000000004C14: 0B03031A
	v_mul_f32_e32 v130, v26, v130                              // 000000004C18: 0B05051A
	v_mul_f32_e32 v131, v26, v131                              // 000000004C1C: 0B07071A
	v_cvt_pk_fp8_f32 v128, v128, v129                          // 000000004C20: D2A20080 00030380
	v_cvt_pk_fp8_f32 v128, v130, v131 op_sel:[0,0,1]           // 000000004C28: D2A24080 00030782
	v_mul_f32_e32 v132, v26, v132                              // 000000004C30: 0B09091A
	v_mul_f32_e32 v133, v26, v133                              // 000000004C34: 0B0B0B1A
	v_mul_f32_e32 v134, v26, v134                              // 000000004C38: 0B0D0D1A
	v_mul_f32_e32 v135, v26, v135                              // 000000004C3C: 0B0F0F1A
	v_cvt_pk_fp8_f32 v129, v132, v133                          // 000000004C40: D2A20081 00030B84
	v_cvt_pk_fp8_f32 v129, v134, v135 op_sel:[0,0,1]           // 000000004C48: D2A24081 00030F86
	v_rcp_f32_e32 v28, v26                                     // 000000004C50: 7E38451A
	v_nop                                                      // 000000004C54: 7E000000
	v_mov_b32_e32 v26, 0x358637bd                              // 000000004C58: 7E3402FF 358637BD
	v_max3_f32 v26, |v136|, |v137|, v26                        // 000000004C60: D1D3031A 046B1388
	v_max3_f32 v26, |v138|, |v139|, v26                        // 000000004C68: D1D3031A 046B178A
	v_max3_f32 v26, |v140|, |v141|, v26                        // 000000004C70: D1D3031A 046B1B8C
	v_max3_f32 v26, |v142|, |v143|, v26                        // 000000004C78: D1D3031A 046B1F8E
	v_mov_b32_e32 v46, v26                                     // 000000004C80: 7E5C031A
	s_nop 1                                                    // 000000004C84: BF800001
	v_permlane32_swap_b32_e32 v46, v26                         // 000000004C88: 7E5CB51A
	v_max_f32_e32 v26, v46, v26                                // 000000004C8C: 1634352E
	v_mov_b32_e32 v46, v26                                     // 000000004C90: 7E5C031A
	s_nop 1                                                    // 000000004C94: BF800001
	v_permlane16_swap_b32_e32 v46, v26                         // 000000004C98: 7E5CB31A
	v_max_f32_e32 v26, v46, v26                                // 000000004C9C: 1634352E
	v_lshlrev_b32_e32 v46, 2, v0                               // 000000004CA0: 245C0082
	s_mul_i32 s60, 64, s7                                      // 000000004CA4: 923C07C0
	v_add_u32_e32 v46, s60, v46                                // 000000004CA8: 685C5C3C
	s_mov_b32 s60, 0xffff                                      // 000000004CAC: BEBC00FF 0000FFFF
	s_mov_b32 s61, 0                                           // 000000004CB4: BEBD0080
	s_mov_b64 exec, s[60:61]                                   // 000000004CB8: BEFE013C
	ds_write_b32 v46, v26 offset:10752                         // 000000004CBC: D81A2A00 00001A2E
	s_mov_b32 s60, -1                                          // 000000004CC4: BEBC00C1
	s_mov_b32 s61, -1                                          // 000000004CC8: BEBD00C1
	s_mov_b64 exec, s[60:61]                                   // 000000004CCC: BEFE013C
	s_waitcnt lgkmcnt(0)                                       // 000000004CD0: BF8CC07F
	s_barrier                                                  // 000000004CD4: BF8A0000
	v_lshlrev_b32_e32 v46, 2, v0                               // 000000004CD8: 245C0082
	ds_read_b32 v144, v46 offset:10752                         // 000000004CDC: D86C2A00 9000002E
	s_waitcnt lgkmcnt(0)                                       // 000000004CE4: BF8CC07F
	v_mov_b32_e32 v46, v144                                    // 000000004CE8: 7E5C0390
	s_nop 1                                                    // 000000004CEC: BF800001
	v_permlane32_swap_b32_e32 v46, v144                        // 000000004CF0: 7E5CB590
	v_max_f32_e32 v144, v46, v144                              // 000000004CF4: 1721212E
	v_mov_b32_e32 v46, v144                                    // 000000004CF8: 7E5C0390
	s_nop 1                                                    // 000000004CFC: BF800001
	v_permlane16_swap_b32_e32 v46, v144                        // 000000004D00: 7E5CB390
	v_max_f32_e32 v144, v46, v144                              // 000000004D04: 1721212E
	v_max_f32_e32 v26, v144, v26                               // 000000004D08: 16343590
	v_rcp_f32_e32 v26, v26                                     // 000000004D0C: 7E34451A
	v_mov_b32_e32 v46, 0x43e00000                              // 000000004D10: 7E5C02FF 43E00000
	v_mul_f32_e32 v26, v46, v26                                // 000000004D18: 0A34352E
	v_mul_f32_e32 v136, v26, v136                              // 000000004D1C: 0B11111A
	v_mul_f32_e32 v137, v26, v137                              // 000000004D20: 0B13131A
	v_mul_f32_e32 v138, v26, v138                              // 000000004D24: 0B15151A
	v_mul_f32_e32 v139, v26, v139                              // 000000004D28: 0B17171A
	v_cvt_pk_fp8_f32 v130, v136, v137                          // 000000004D2C: D2A20082 00031388
	v_cvt_pk_fp8_f32 v130, v138, v139 op_sel:[0,0,1]           // 000000004D34: D2A24082 0003178A
	v_mul_f32_e32 v140, v26, v140                              // 000000004D3C: 0B19191A
	v_mul_f32_e32 v141, v26, v141                              // 000000004D40: 0B1B1B1A
	v_mul_f32_e32 v142, v26, v142                              // 000000004D44: 0B1D1D1A
	v_mul_f32_e32 v143, v26, v143                              // 000000004D48: 0B1F1F1A
	v_cvt_pk_fp8_f32 v131, v140, v141                          // 000000004D4C: D2A20083 00031B8C
	v_cvt_pk_fp8_f32 v131, v142, v143 op_sel:[0,0,1]           // 000000004D54: D2A24083 00031F8E
	v_rcp_f32_e32 v29, v26                                     // 000000004D5C: 7E3A451A
	v_nop                                                      // 000000004D60: 7E000000
	v_lshrrev_b32_e32 v46, 5, v0                               // 000000004D64: 205C0085
	v_lshlrev_b32_e32 v47, 6, v46                              // 000000004D68: 245E5C86
	v_and_b32_e32 v46, 31, v0                                  // 000000004D6C: 265C009F
	v_lshrrev_b32_e32 v48, 4, v46                              // 000000004D70: 20605C84
	v_add_u32_e32 v47, v48, v47                                // 000000004D74: 685E5F30
	v_and_b32_e32 v46, 15, v0                                  // 000000004D78: 265C008F
	v_lshlrev_b32_e32 v46, 1, v46                              // 000000004D7C: 245C5C81
	v_add_u32_e32 v47, v46, v47                                // 000000004D80: 685E5F2E
	v_lshlrev_b32_e32 v46, 2, v47                              // 000000004D84: 245C5E82
	s_mov_b32 s60, 0                                           // 000000004D88: BEBC0080
	s_lshr_b32 s61, s7, 1                                      // 000000004D8C: 8F3D8107
	s_mul_i32 s61, s61, 0x200                                  // 000000004D90: 923DFF3D 00000200
	s_add_u32 s60, s61, s60                                    // 000000004D98: 803C3C3D
	s_and_b32 s61, s7, 1                                       // 000000004D9C: 863D8107
	s_mul_i32 s61, s61, 0x80                                   // 000000004DA0: 923DFF3D 00000080
	s_add_u32 s60, s61, s60                                    // 000000004DA8: 803C3C3D
	v_add_u32_e64 v46, v46, s60                                // 000000004DAC: D134002E 0000792E
	ds_write_b32 v46, v128 offset:11776                        // 000000004DB4: D81A2E00 0000802E
	ds_write_b32 v46, v129 offset:12800                        // 000000004DBC: D81A3200 0000812E
	ds_write_b32 v46, v130 offset:13824                        // 000000004DC4: D81A3600 0000822E
	ds_write_b32 v46, v131 offset:14848                        // 000000004DCC: D81A3A00 0000832E
	s_waitcnt lgkmcnt(0)                                       // 000000004DD4: BF8CC07F
	s_barrier                                                  // 000000004DD8: BF8A0000
	v_and_b32_e32 v46, 31, v0                                  // 000000004DDC: 265C009F
	v_lshrrev_b32_e32 v46, 4, v46                              // 000000004DE0: 205C5C84
	v_lshlrev_b32_e32 v47, 5, v46                              // 000000004DE4: 245E5C85
	v_lshrrev_b32_e32 v46, 5, v0                               // 000000004DE8: 205C0085
	v_lshlrev_b32_e32 v46, 7, v46                              // 000000004DEC: 245C5C87
	v_add_u32_e32 v47, v46, v47                                // 000000004DF0: 685E5F2E
	v_and_b32_e32 v46, 15, v0                                  // 000000004DF4: 265C008F
	v_lshlrev_b32_e32 v46, 1, v46                              // 000000004DF8: 245C5C81
	v_add_u32_e32 v47, v46, v47                                // 000000004DFC: 685E5F2E
	v_lshlrev_b32_e32 v46, 2, v47                              // 000000004E00: 245C5E82
	ds_read_b64 v[128:129], v46 offset:11776                   // 000000004E04: D8EC2E00 8000002E
	ds_read_b64 v[130:131], v46 offset:12032                   // 000000004E0C: D8EC2F00 8200002E
	ds_read_b64 v[132:133], v46 offset:12800                   // 000000004E14: D8EC3200 8400002E
	ds_read_b64 v[134:135], v46 offset:13056                   // 000000004E1C: D8EC3300 8600002E
	ds_read_b64 v[136:137], v46 offset:13824                   // 000000004E24: D8EC3600 8800002E
	ds_read_b64 v[138:139], v46 offset:14080                   // 000000004E2C: D8EC3700 8A00002E
	ds_read_b64 v[140:141], v46 offset:14848                   // 000000004E34: D8EC3A00 8C00002E
	ds_read_b64 v[142:143], v46 offset:15104                   // 000000004E3C: D8EC3B00 8E00002E
	s_waitcnt lgkmcnt(0)                                       // 000000004E44: BF8CC07F
	s_barrier                                                  // 000000004E48: BF8A0000
	v_mov_b32_e32 v160, 0                                      // 000000004E4C: 7F400280
	v_mov_b32_e32 v176, 0                                      // 000000004E50: 7F600280
	v_mov_b32_e32 v161, 0                                      // 000000004E54: 7F420280
	v_mov_b32_e32 v177, 0                                      // 000000004E58: 7F620280
	v_mov_b32_e32 v162, 0                                      // 000000004E5C: 7F440280
	v_mov_b32_e32 v178, 0                                      // 000000004E60: 7F640280
	v_mov_b32_e32 v163, 0                                      // 000000004E64: 7F460280
	v_mov_b32_e32 v179, 0                                      // 000000004E68: 7F660280
	v_mov_b32_e32 v164, 0                                      // 000000004E6C: 7F480280
	v_mov_b32_e32 v180, 0                                      // 000000004E70: 7F680280
	v_mov_b32_e32 v165, 0                                      // 000000004E74: 7F4A0280
	v_mov_b32_e32 v181, 0                                      // 000000004E78: 7F6A0280
	v_mov_b32_e32 v166, 0                                      // 000000004E7C: 7F4C0280
	v_mov_b32_e32 v182, 0                                      // 000000004E80: 7F6C0280
	v_mov_b32_e32 v167, 0                                      // 000000004E84: 7F4E0280
	v_mov_b32_e32 v183, 0                                      // 000000004E88: 7F6E0280
	v_mov_b32_e32 v168, 0                                      // 000000004E8C: 7F500280
	v_mov_b32_e32 v184, 0                                      // 000000004E90: 7F700280
	v_mov_b32_e32 v169, 0                                      // 000000004E94: 7F520280
	v_mov_b32_e32 v185, 0                                      // 000000004E98: 7F720280
	v_mov_b32_e32 v170, 0                                      // 000000004E9C: 7F540280
	v_mov_b32_e32 v186, 0                                      // 000000004EA0: 7F740280
	v_mov_b32_e32 v171, 0                                      // 000000004EA4: 7F560280
	v_mov_b32_e32 v187, 0                                      // 000000004EA8: 7F760280
	v_mov_b32_e32 v172, 0                                      // 000000004EAC: 7F580280
	v_mov_b32_e32 v188, 0                                      // 000000004EB0: 7F780280
	v_mov_b32_e32 v173, 0                                      // 000000004EB4: 7F5A0280
	v_mov_b32_e32 v189, 0                                      // 000000004EB8: 7F7A0280
	v_mov_b32_e32 v174, 0                                      // 000000004EBC: 7F5C0280
	v_mov_b32_e32 v190, 0                                      // 000000004EC0: 7F7C0280
	v_mov_b32_e32 v175, 0                                      // 000000004EC4: 7F5E0280
	v_mov_b32_e32 v191, 0                                      // 000000004EC8: 7F7E0280
	ds_write_b64 v4, v[160:161] offset:11776                   // 000000004ECC: D89A2E00 0000A004
	ds_write_b64 v4, v[162:163] offset:13952                   // 000000004ED4: D89A3680 0000A204
	ds_write_b64 v4, v[164:165] offset:16128                   // 000000004EDC: D89A3F00 0000A404
	ds_write_b64 v4, v[166:167] offset:18304                   // 000000004EE4: D89A4780 0000A604
	s_mov_b32 s80, 0                                           // 000000004EEC: BED00080

0000000000004ef0 <label_083C>:
	s_waitcnt vmcnt(29) lgkmcnt(0)                             // 000000004EF0: BF8C407D
	s_barrier                                                  // 000000004EF4: BF8A0000
	v_mfma_f32_16x16x128_f8f6f4 v[160:163], a[0:7], v[128:135], 0// 000000004EF8: D3AD00A0 0A030100
	ds_read_b32 v64, v5 offset:11776                           // 000000004F00: D86C2E00 40000005
	ds_read_b32 v65, v5 offset:16128                           // 000000004F08: D86C3F00 41000005
	ds_read_b32 v66, v5 offset:11784                           // 000000004F10: D86C2E08 42000005
	ds_read_b32 v67, v5 offset:16136                           // 000000004F18: D86C3F08 43000005
	ds_read_b32 v68, v5 offset:11808                           // 000000004F20: D86C2E20 44000005
	ds_read_b32 v69, v5 offset:16160                           // 000000004F28: D86C3F20 45000005
	ds_read_b32 v70, v5 offset:11816                           // 000000004F30: D86C2E28 46000005
	ds_read_b32 v71, v5 offset:16168                           // 000000004F38: D86C3F28 47000005
	v_mfma_f32_16x16x128_f8f6f4 v[164:167], a[8:15], v[128:135], 0// 000000004F40: D3AD00A4 0A030108
	buffer_load_dword v21, v6, s[16:19], 0 offen               // 000000004F48: E0501000 80041506
	buffer_load_dwordx4 a[128:131], v37, s[12:15], 0 offen     // 000000004F50: E05C1000 80838025
	buffer_load_dwordx4 a[132:135], v37, s[12:15], 0 offen offset:1024// 000000004F58: E05C1400 80838425
	buffer_load_dwordx4 a[136:139], v38, s[12:15], 0 offen     // 000000004F60: E05C1000 80838826
	buffer_load_dwordx4 a[140:143], v38, s[12:15], 0 offen offset:1024// 000000004F68: E05C1400 80838C26
	s_waitcnt vmcnt(29)                                        // 000000004F70: BF8C4F7D
	v_mfma_f32_16x16x128_f8f6f4 v[168:171], a[16:23], v[128:135], 0// 000000004F74: D3AD00A8 0A030110
	v_mfma_f32_16x16x128_f8f6f4 v[172:175], a[24:31], v[128:135], 0// 000000004F7C: D3AD00AC 0A030118
	buffer_load_dwordx4 a[144:147], v39, s[12:15], 0 offen     // 000000004F84: E05C1000 80839027
	buffer_load_dwordx4 a[148:151], v39, s[12:15], 0 offen offset:1024// 000000004F8C: E05C1400 80839427
	buffer_load_dwordx4 a[152:155], v40, s[12:15], 0 offen     // 000000004F94: E05C1000 80839828
	buffer_load_dwordx4 a[156:159], v40, s[12:15], 0 offen offset:1024// 000000004F9C: E05C1400 80839C28
	s_add_u32 s12, s78, s12                                    // 000000004FA4: 800C0C4E
	s_addc_u32 s13, 0, s13                                     // 000000004FA8: 820D0D80
	v_mul_f32_dpp v46, v19, v28 row_newbcast:0 row_mask:0xf bank_mask:0xf// 000000004FAC: 0A5C38FA FF015013
	v_mov_b32_e32 v47, v46                                     // 000000004FB4: 7E5E032E
	v_pk_mul_f32 v[160:161], v[46:47], v[160:161]              // 000000004FB8: D3B140A0 1803412E
	v_pk_mul_f32 v[162:163], v[46:47], v[162:163]              // 000000004FC0: D3B140A2 1803452E
	v_pk_mul_f32 v[164:165], v[46:47], v[164:165]              // 000000004FC8: D3B140A4 1803492E
	v_pk_mul_f32 v[166:167], v[46:47], v[166:167]              // 000000004FD0: D3B140A6 18034D2E
	v_mul_f32_dpp v46, v19, v28 row_newbcast:1 row_mask:0xf bank_mask:0xf// 000000004FD8: 0A5C38FA FF015113
	v_mov_b32_e32 v47, v46                                     // 000000004FE0: 7E5E032E
	v_pk_mul_f32 v[168:169], v[46:47], v[168:169]              // 000000004FE4: D3B140A8 1803512E
	v_pk_mul_f32 v[170:171], v[46:47], v[170:171]              // 000000004FEC: D3B140AA 1803552E
	v_pk_mul_f32 v[172:173], v[46:47], v[172:173]              // 000000004FF4: D3B140AC 1803592E
	v_pk_mul_f32 v[174:175], v[46:47], v[174:175]              // 000000004FFC: D3B140AE 18035D2E
	s_waitcnt vmcnt(29)                                        // 000000005004: BF8C4F7D
	v_mfma_f32_16x16x128_f8f6f4 v[144:147], a[32:39], v[136:143], 0// 000000005008: D3AD0090 0A031120
	ds_write_b64 v4, v[176:177] offset:29184                   // 000000005010: D89A7200 0000B004
	ds_write_b64 v4, v[178:179] offset:31360                   // 000000005018: D89A7A80 0000B204
	ds_write_b64 v4, v[180:181] offset:33536                   // 000000005020: D89A8300 0000B404
	ds_write_b64 v4, v[182:183] offset:35712                   // 000000005028: D89A8B80 0000B604
	v_mfma_f32_16x16x128_f8f6f4 v[148:151], a[40:47], v[136:143], 0// 000000005030: D3AD0094 0A031128
	buffer_load_dwordx4 a[160:163], v37, s[12:15], 0 offen     // 000000005038: E05C1000 8083A025
	buffer_load_dwordx4 a[164:167], v37, s[12:15], 0 offen offset:1024// 000000005040: E05C1400 8083A425
	buffer_load_dwordx4 a[168:171], v38, s[12:15], 0 offen     // 000000005048: E05C1000 8083A826
	buffer_load_dwordx4 a[172:175], v38, s[12:15], 0 offen offset:1024// 000000005050: E05C1400 8083AC26
	s_waitcnt vmcnt(29)                                        // 000000005058: BF8C4F7D
	v_mfma_f32_16x16x128_f8f6f4 v[152:155], a[48:55], v[136:143], 0// 00000000505C: D3AD0098 0A031130
	v_mfma_f32_16x16x128_f8f6f4 v[156:159], a[56:63], v[136:143], 0// 000000005064: D3AD009C 0A031138
	buffer_load_dwordx4 a[176:179], v39, s[12:15], 0 offen     // 00000000506C: E05C1000 8083B027
	buffer_load_dwordx4 a[180:183], v39, s[12:15], 0 offen offset:1024// 000000005074: E05C1400 8083B427
	buffer_load_dwordx4 a[184:187], v40, s[12:15], 0 offen     // 00000000507C: E05C1000 8083B828
	buffer_load_dwordx4 a[188:191], v40, s[12:15], 0 offen offset:1024// 000000005084: E05C1400 8083BC28
	v_mul_f32_dpp v46, v19, v29 row_newbcast:2 row_mask:0xf bank_mask:0xf// 00000000508C: 0A5C3AFA FF015213
	v_mov_b32_e32 v47, v46                                     // 000000005094: 7E5E032E
	v_pk_fma_f32 v[160:161], v[144:145], v[46:47], v[160:161]  // 000000005098: D3B040A0 1E825D90
	v_pk_fma_f32 v[162:163], v[146:147], v[46:47], v[162:163]  // 0000000050A0: D3B040A2 1E8A5D92
	v_pk_fma_f32 v[164:165], v[148:149], v[46:47], v[164:165]  // 0000000050A8: D3B040A4 1E925D94
	v_pk_fma_f32 v[166:167], v[150:151], v[46:47], v[166:167]  // 0000000050B0: D3B040A6 1E9A5D96
	v_mul_f32_dpp v46, v19, v29 row_newbcast:3 row_mask:0xf bank_mask:0xf// 0000000050B8: 0A5C3AFA FF015313
	v_mov_b32_e32 v47, v46                                     // 0000000050C0: 7E5E032E
	v_pk_fma_f32 v[168:169], v[152:153], v[46:47], v[168:169]  // 0000000050C4: D3B040A8 1EA25D98
	v_pk_fma_f32 v[170:171], v[154:155], v[46:47], v[170:171]  // 0000000050CC: D3B040AA 1EAA5D9A
	v_pk_fma_f32 v[172:173], v[156:157], v[46:47], v[172:173]  // 0000000050D4: D3B040AC 1EB25D9C
	v_pk_fma_f32 v[174:175], v[158:159], v[46:47], v[174:175]  // 0000000050DC: D3B040AE 1EBA5D9E
	s_add_u32 s60, 0x300, s80                                  // 0000000050E4: 803C50FF 00000300
	s_cmp_lt_u32 s60, s81                                      // 0000000050EC: BF0A513C
	s_cselect_b32 s56, s56, 0                                  // 0000000050F0: 85388038
	s_cselect_b32 s78, s78, 0                                  // 0000000050F4: 854E804E
	s_cselect_b32 s79, s79, 0                                  // 0000000050F8: 854F804F
	s_add_u32 s12, s56, s12                                    // 0000000050FC: 800C0C38
	s_addc_u32 s13, 0, s13                                     // 000000005100: 820D0D80
	s_add_u32 s16, s79, s16                                    // 000000005104: 8010104F
	s_addc_u32 s17, 0, s17                                     // 000000005108: 82111180
	v_mov_b32_e32 v46, v23                                     // 00000000510C: 7E5C0317
	v_mov_b32_e32 v47, v23                                     // 000000005110: 7E5E0317
	v_pk_mul_f32 v[160:161], v[46:47], v[160:161]              // 000000005114: D3B140A0 1803412E
	v_pk_mul_f32 v[162:163], v[46:47], v[162:163]              // 00000000511C: D3B140A2 1803452E
	v_pk_mul_f32 v[164:165], v[46:47], v[164:165]              // 000000005124: D3B140A4 1803492E
	v_pk_mul_f32 v[166:167], v[46:47], v[166:167]              // 00000000512C: D3B140A6 18034D2E
	v_pk_mul_f32 v[168:169], v[46:47], v[168:169]              // 000000005134: D3B140A8 1803512E
	v_pk_mul_f32 v[170:171], v[46:47], v[170:171]              // 00000000513C: D3B140AA 1803552E
	v_pk_mul_f32 v[172:173], v[46:47], v[172:173]              // 000000005144: D3B140AC 1803592E
	v_pk_mul_f32 v[174:175], v[46:47], v[174:175]              // 00000000514C: D3B140AE 18035D2E
	v_cvt_pk_bf16_f32 v160, v160, v161                         // 000000005154: D26800A0 000343A0
	v_cvt_pk_bf16_f32 v161, v162, v163                         // 00000000515C: D26800A1 000347A2
	v_cvt_pk_bf16_f32 v162, v164, v165                         // 000000005164: D26800A2 00034BA4
	v_cvt_pk_bf16_f32 v163, v166, v167                         // 00000000516C: D26800A3 00034FA6
	v_cvt_pk_bf16_f32 v164, v168, v169                         // 000000005174: D26800A4 000353A8
	v_cvt_pk_bf16_f32 v165, v170, v171                         // 00000000517C: D26800A5 000357AA
	v_cvt_pk_bf16_f32 v166, v172, v173                         // 000000005184: D26800A6 00035BAC
	v_cvt_pk_bf16_f32 v167, v174, v175                         // 00000000518C: D26800A7 00035FAE
	s_cmp_ge_u32 s80, 0x200                                    // 000000005194: BF09FF50 00000200
	s_cselect_b32 s59, 0x200, s59                              // 00000000519C: 853B3BFF 00000200
	s_waitcnt lgkmcnt(0)                                       // 0000000051A4: BF8CC07F
	s_barrier                                                  // 0000000051A8: BF8A0000
	s_setvskip s20, 0                                          // 0000000051AC: BF108014
	global_atomic_pk_add_bf16 v80, v64, s[8:9]                 // 0000000051B0: DD488000 00084050
	s_setvskip 0, 0                                            // 0000000051B8: BF108080
	s_setvskip s20, 0                                          // 0000000051BC: BF108014
	global_atomic_pk_add_bf16 v80, v65, s[8:9] offset:256      // 0000000051C0: DD488100 00084150
	s_setvskip 0, 0                                            // 0000000051C8: BF108080
	s_setvskip s20, 1                                          // 0000000051CC: BF108114
	global_atomic_pk_add_bf16 v82, v66, s[8:9]                 // 0000000051D0: DD488000 00084252
	s_setvskip 0, 0                                            // 0000000051D8: BF108080
	s_setvskip s20, 1                                          // 0000000051DC: BF108114
	global_atomic_pk_add_bf16 v82, v67, s[8:9] offset:256      // 0000000051E0: DD488100 00084352
	s_setvskip 0, 0                                            // 0000000051E8: BF108080
	s_setvskip s20, 2                                          // 0000000051EC: BF108214
	global_atomic_pk_add_bf16 v84, v68, s[8:9]                 // 0000000051F0: DD488000 00084454
	s_setvskip 0, 0                                            // 0000000051F8: BF108080
	s_setvskip s20, 2                                          // 0000000051FC: BF108214
	global_atomic_pk_add_bf16 v84, v69, s[8:9] offset:256      // 000000005200: DD488100 00084554
	s_setvskip 0, 0                                            // 000000005208: BF108080
	s_setvskip s20, 3                                          // 00000000520C: BF108314
	global_atomic_pk_add_bf16 v86, v70, s[8:9]                 // 000000005210: DD488000 00084656
	s_setvskip 0, 0                                            // 000000005218: BF108080
	s_setvskip s20, 3                                          // 00000000521C: BF108314
	global_atomic_pk_add_bf16 v86, v71, s[8:9] offset:256      // 000000005220: DD488100 00084756
	s_setvskip 0, 0                                            // 000000005228: BF108080
	s_add_u32 s8, s59, s8                                      // 00000000522C: 8008083B
	s_addc_u32 s9, 0, s9                                       // 000000005230: 82090980
	s_addk_i32 s80, 0x100                                      // 000000005234: B7500100
	s_cmp_lt_i32 s80, s81                                      // 000000005238: BF045150
	s_cbranch_scc0 label_0D35                                  // 00000000523C: BF840425
	s_waitcnt vmcnt(29) lgkmcnt(0)                             // 000000005240: BF8C407D
	s_barrier                                                  // 000000005244: BF8A0000
	v_mfma_f32_16x16x128_f8f6f4 v[176:179], a[64:71], v[128:135], 0// 000000005248: D3AD00B0 0A030140
	ds_read_b32 v64, v5 offset:29184                           // 000000005250: D86C7200 40000005
	ds_read_b32 v65, v5 offset:33536                           // 000000005258: D86C8300 41000005
	ds_read_b32 v66, v5 offset:29192                           // 000000005260: D86C7208 42000005
	ds_read_b32 v67, v5 offset:33544                           // 000000005268: D86C8308 43000005
	ds_read_b32 v68, v5 offset:29216                           // 000000005270: D86C7220 44000005
	ds_read_b32 v69, v5 offset:33568                           // 000000005278: D86C8320 45000005
	ds_read_b32 v70, v5 offset:29224                           // 000000005280: D86C7228 46000005
	ds_read_b32 v71, v5 offset:33576                           // 000000005288: D86C8328 47000005
	v_mfma_f32_16x16x128_f8f6f4 v[180:183], a[72:79], v[128:135], 0// 000000005290: D3AD00B4 0A030148
	buffer_load_dword v19, v6, s[16:19], 0 offen               // 000000005298: E0501000 80041306
	buffer_load_dwordx4 a[0:3], v37, s[12:15], 0 offen         // 0000000052A0: E05C1000 80830025
	buffer_load_dwordx4 a[4:7], v37, s[12:15], 0 offen offset:1024// 0000000052A8: E05C1400 80830425
	buffer_load_dwordx4 a[8:11], v38, s[12:15], 0 offen        // 0000000052B0: E05C1000 80830826
	buffer_load_dwordx4 a[12:15], v38, s[12:15], 0 offen offset:1024// 0000000052B8: E05C1400 80830C26
	s_waitcnt vmcnt(29)                                        // 0000000052C0: BF8C4F7D
	v_mfma_f32_16x16x128_f8f6f4 v[184:187], a[80:87], v[128:135], 0// 0000000052C4: D3AD00B8 0A030150
	v_mfma_f32_16x16x128_f8f6f4 v[188:191], a[88:95], v[128:135], 0// 0000000052CC: D3AD00BC 0A030158
	buffer_load_dwordx4 a[16:19], v39, s[12:15], 0 offen       // 0000000052D4: E05C1000 80831027
	buffer_load_dwordx4 a[20:23], v39, s[12:15], 0 offen offset:1024// 0000000052DC: E05C1400 80831427
	buffer_load_dwordx4 a[24:27], v40, s[12:15], 0 offen       // 0000000052E4: E05C1000 80831828
	buffer_load_dwordx4 a[28:31], v40, s[12:15], 0 offen offset:1024// 0000000052EC: E05C1400 80831C28
	s_add_u32 s12, s78, s12                                    // 0000000052F4: 800C0C4E
	s_addc_u32 s13, 0, s13                                     // 0000000052F8: 820D0D80
	v_mul_f32_dpp v46, v20, v28 row_newbcast:0 row_mask:0xf bank_mask:0xf// 0000000052FC: 0A5C38FA FF015014
	v_mov_b32_e32 v47, v46                                     // 000000005304: 7E5E032E
	v_pk_mul_f32 v[176:177], v[46:47], v[176:177]              // 000000005308: D3B140B0 1803612E
	v_pk_mul_f32 v[178:179], v[46:47], v[178:179]              // 000000005310: D3B140B2 1803652E
	v_pk_mul_f32 v[180:181], v[46:47], v[180:181]              // 000000005318: D3B140B4 1803692E
	v_pk_mul_f32 v[182:183], v[46:47], v[182:183]              // 000000005320: D3B140B6 18036D2E
	v_mul_f32_dpp v46, v20, v28 row_newbcast:1 row_mask:0xf bank_mask:0xf// 000000005328: 0A5C38FA FF015114
	v_mov_b32_e32 v47, v46                                     // 000000005330: 7E5E032E
	v_pk_mul_f32 v[184:185], v[46:47], v[184:185]              // 000000005334: D3B140B8 1803712E
	v_pk_mul_f32 v[186:187], v[46:47], v[186:187]              // 00000000533C: D3B140BA 1803752E
	v_pk_mul_f32 v[188:189], v[46:47], v[188:189]              // 000000005344: D3B140BC 1803792E
	v_pk_mul_f32 v[190:191], v[46:47], v[190:191]              // 00000000534C: D3B140BE 18037D2E
	s_waitcnt vmcnt(29)                                        // 000000005354: BF8C4F7D
	v_mfma_f32_16x16x128_f8f6f4 v[144:147], a[96:103], v[136:143], 0// 000000005358: D3AD0090 0A031160
	ds_write_b64 v4, v[160:161] offset:11776                   // 000000005360: D89A2E00 0000A004
	ds_write_b64 v4, v[162:163] offset:13952                   // 000000005368: D89A3680 0000A204
	ds_write_b64 v4, v[164:165] offset:16128                   // 000000005370: D89A3F00 0000A404
	ds_write_b64 v4, v[166:167] offset:18304                   // 000000005378: D89A4780 0000A604
	v_mfma_f32_16x16x128_f8f6f4 v[148:151], a[104:111], v[136:143], 0// 000000005380: D3AD0094 0A031168
	buffer_load_dwordx4 a[32:35], v37, s[12:15], 0 offen       // 000000005388: E05C1000 80832025
	buffer_load_dwordx4 a[36:39], v37, s[12:15], 0 offen offset:1024// 000000005390: E05C1400 80832425
	buffer_load_dwordx4 a[40:43], v38, s[12:15], 0 offen       // 000000005398: E05C1000 80832826
	buffer_load_dwordx4 a[44:47], v38, s[12:15], 0 offen offset:1024// 0000000053A0: E05C1400 80832C26
	s_waitcnt vmcnt(29)                                        // 0000000053A8: BF8C4F7D
	v_mfma_f32_16x16x128_f8f6f4 v[152:155], a[112:119], v[136:143], 0// 0000000053AC: D3AD0098 0A031170
	v_mfma_f32_16x16x128_f8f6f4 v[156:159], a[120:127], v[136:143], 0// 0000000053B4: D3AD009C 0A031178
	buffer_load_dwordx4 a[48:51], v39, s[12:15], 0 offen       // 0000000053BC: E05C1000 80833027
	buffer_load_dwordx4 a[52:55], v39, s[12:15], 0 offen offset:1024// 0000000053C4: E05C1400 80833427
	buffer_load_dwordx4 a[56:59], v40, s[12:15], 0 offen       // 0000000053CC: E05C1000 80833828
	buffer_load_dwordx4 a[60:63], v40, s[12:15], 0 offen offset:1024// 0000000053D4: E05C1400 80833C28
	v_mul_f32_dpp v46, v20, v29 row_newbcast:2 row_mask:0xf bank_mask:0xf// 0000000053DC: 0A5C3AFA FF015214
	v_mov_b32_e32 v47, v46                                     // 0000000053E4: 7E5E032E
	v_pk_fma_f32 v[176:177], v[144:145], v[46:47], v[176:177]  // 0000000053E8: D3B040B0 1EC25D90
	v_pk_fma_f32 v[178:179], v[146:147], v[46:47], v[178:179]  // 0000000053F0: D3B040B2 1ECA5D92
	v_pk_fma_f32 v[180:181], v[148:149], v[46:47], v[180:181]  // 0000000053F8: D3B040B4 1ED25D94
	v_pk_fma_f32 v[182:183], v[150:151], v[46:47], v[182:183]  // 000000005400: D3B040B6 1EDA5D96
	v_mul_f32_dpp v46, v20, v29 row_newbcast:3 row_mask:0xf bank_mask:0xf// 000000005408: 0A5C3AFA FF015314
	v_mov_b32_e32 v47, v46                                     // 000000005410: 7E5E032E
	v_pk_fma_f32 v[184:185], v[152:153], v[46:47], v[184:185]  // 000000005414: D3B040B8 1EE25D98
	v_pk_fma_f32 v[186:187], v[154:155], v[46:47], v[186:187]  // 00000000541C: D3B040BA 1EEA5D9A
	v_pk_fma_f32 v[188:189], v[156:157], v[46:47], v[188:189]  // 000000005424: D3B040BC 1EF25D9C
	v_pk_fma_f32 v[190:191], v[158:159], v[46:47], v[190:191]  // 00000000542C: D3B040BE 1EFA5D9E
	s_add_u32 s60, 0x300, s80                                  // 000000005434: 803C50FF 00000300
	s_cmp_lt_u32 s60, s81                                      // 00000000543C: BF0A513C
	s_cselect_b32 s56, s56, 0                                  // 000000005440: 85388038
	s_cselect_b32 s78, s78, 0                                  // 000000005444: 854E804E
	s_cselect_b32 s79, s79, 0                                  // 000000005448: 854F804F
	s_add_u32 s12, s56, s12                                    // 00000000544C: 800C0C38
	s_addc_u32 s13, 0, s13                                     // 000000005450: 820D0D80
	s_add_u32 s16, s79, s16                                    // 000000005454: 8010104F
	s_addc_u32 s17, 0, s17                                     // 000000005458: 82111180
	v_mov_b32_e32 v46, v23                                     // 00000000545C: 7E5C0317
	v_mov_b32_e32 v47, v23                                     // 000000005460: 7E5E0317
	v_pk_mul_f32 v[176:177], v[46:47], v[176:177]              // 000000005464: D3B140B0 1803612E
	v_pk_mul_f32 v[178:179], v[46:47], v[178:179]              // 00000000546C: D3B140B2 1803652E
	v_pk_mul_f32 v[180:181], v[46:47], v[180:181]              // 000000005474: D3B140B4 1803692E
	v_pk_mul_f32 v[182:183], v[46:47], v[182:183]              // 00000000547C: D3B140B6 18036D2E
	v_pk_mul_f32 v[184:185], v[46:47], v[184:185]              // 000000005484: D3B140B8 1803712E
	v_pk_mul_f32 v[186:187], v[46:47], v[186:187]              // 00000000548C: D3B140BA 1803752E
	v_pk_mul_f32 v[188:189], v[46:47], v[188:189]              // 000000005494: D3B140BC 1803792E
	v_pk_mul_f32 v[190:191], v[46:47], v[190:191]              // 00000000549C: D3B140BE 18037D2E
	v_cvt_pk_bf16_f32 v176, v176, v177                         // 0000000054A4: D26800B0 000363B0
	v_cvt_pk_bf16_f32 v177, v178, v179                         // 0000000054AC: D26800B1 000367B2
	v_cvt_pk_bf16_f32 v178, v180, v181                         // 0000000054B4: D26800B2 00036BB4
	v_cvt_pk_bf16_f32 v179, v182, v183                         // 0000000054BC: D26800B3 00036FB6
	v_cvt_pk_bf16_f32 v180, v184, v185                         // 0000000054C4: D26800B4 000373B8
	v_cvt_pk_bf16_f32 v181, v186, v187                         // 0000000054CC: D26800B5 000377BA
	v_cvt_pk_bf16_f32 v182, v188, v189                         // 0000000054D4: D26800B6 00037BBC
	v_cvt_pk_bf16_f32 v183, v190, v191                         // 0000000054DC: D26800B7 00037FBE
	s_cmp_ge_u32 s80, 0x200                                    // 0000000054E4: BF09FF50 00000200
	s_cselect_b32 s59, 0x200, s59                              // 0000000054EC: 853B3BFF 00000200
	s_waitcnt lgkmcnt(0)                                       // 0000000054F4: BF8CC07F
	s_barrier                                                  // 0000000054F8: BF8A0000
	s_setvskip s20, 0                                          // 0000000054FC: BF108014
	global_atomic_pk_add_bf16 v80, v64, s[8:9]                 // 000000005500: DD488000 00084050
	s_setvskip 0, 0                                            // 000000005508: BF108080
	s_setvskip s20, 0                                          // 00000000550C: BF108014
	global_atomic_pk_add_bf16 v80, v65, s[8:9] offset:256      // 000000005510: DD488100 00084150
	s_setvskip 0, 0                                            // 000000005518: BF108080
	s_setvskip s20, 1                                          // 00000000551C: BF108114
	global_atomic_pk_add_bf16 v82, v66, s[8:9]                 // 000000005520: DD488000 00084252
	s_setvskip 0, 0                                            // 000000005528: BF108080
	s_setvskip s20, 1                                          // 00000000552C: BF108114
	global_atomic_pk_add_bf16 v82, v67, s[8:9] offset:256      // 000000005530: DD488100 00084352
	s_setvskip 0, 0                                            // 000000005538: BF108080
	s_setvskip s20, 2                                          // 00000000553C: BF108214
	global_atomic_pk_add_bf16 v84, v68, s[8:9]                 // 000000005540: DD488000 00084454
	s_setvskip 0, 0                                            // 000000005548: BF108080
	s_setvskip s20, 2                                          // 00000000554C: BF108214
	global_atomic_pk_add_bf16 v84, v69, s[8:9] offset:256      // 000000005550: DD488100 00084554
	s_setvskip 0, 0                                            // 000000005558: BF108080
	s_setvskip s20, 3                                          // 00000000555C: BF108314
	global_atomic_pk_add_bf16 v86, v70, s[8:9]                 // 000000005560: DD488000 00084656
	s_setvskip 0, 0                                            // 000000005568: BF108080
	s_setvskip s20, 3                                          // 00000000556C: BF108314
	global_atomic_pk_add_bf16 v86, v71, s[8:9] offset:256      // 000000005570: DD488100 00084756
	s_setvskip 0, 0                                            // 000000005578: BF108080
	s_add_u32 s8, s59, s8                                      // 00000000557C: 8008083B
	s_addc_u32 s9, 0, s9                                       // 000000005580: 82090980
	s_addk_i32 s80, 0x100                                      // 000000005584: B7500100
	s_cmp_lt_i32 s80, s81                                      // 000000005588: BF045150
	s_cbranch_scc0 label_0D35                                  // 00000000558C: BF840351
	s_waitcnt vmcnt(29) lgkmcnt(0)                             // 000000005590: BF8C407D
	s_barrier                                                  // 000000005594: BF8A0000
	v_mfma_f32_16x16x128_f8f6f4 v[160:163], a[128:135], v[128:135], 0// 000000005598: D3AD00A0 0A030180
	ds_read_b32 v64, v5 offset:11776                           // 0000000055A0: D86C2E00 40000005
	ds_read_b32 v65, v5 offset:16128                           // 0000000055A8: D86C3F00 41000005
	ds_read_b32 v66, v5 offset:11784                           // 0000000055B0: D86C2E08 42000005
	ds_read_b32 v67, v5 offset:16136                           // 0000000055B8: D86C3F08 43000005
	ds_read_b32 v68, v5 offset:11808                           // 0000000055C0: D86C2E20 44000005
	ds_read_b32 v69, v5 offset:16160                           // 0000000055C8: D86C3F20 45000005
	ds_read_b32 v70, v5 offset:11816                           // 0000000055D0: D86C2E28 46000005
	ds_read_b32 v71, v5 offset:16168                           // 0000000055D8: D86C3F28 47000005
	v_mfma_f32_16x16x128_f8f6f4 v[164:167], a[136:143], v[128:135], 0// 0000000055E0: D3AD00A4 0A030188
	buffer_load_dword v20, v6, s[16:19], 0 offen               // 0000000055E8: E0501000 80041406
	buffer_load_dwordx4 a[64:67], v37, s[12:15], 0 offen       // 0000000055F0: E05C1000 80834025
	buffer_load_dwordx4 a[68:71], v37, s[12:15], 0 offen offset:1024// 0000000055F8: E05C1400 80834425
	buffer_load_dwordx4 a[72:75], v38, s[12:15], 0 offen       // 000000005600: E05C1000 80834826
	buffer_load_dwordx4 a[76:79], v38, s[12:15], 0 offen offset:1024// 000000005608: E05C1400 80834C26
	s_waitcnt vmcnt(29)                                        // 000000005610: BF8C4F7D
	v_mfma_f32_16x16x128_f8f6f4 v[168:171], a[144:151], v[128:135], 0// 000000005614: D3AD00A8 0A030190
	v_mfma_f32_16x16x128_f8f6f4 v[172:175], a[152:159], v[128:135], 0// 00000000561C: D3AD00AC 0A030198
	buffer_load_dwordx4 a[80:83], v39, s[12:15], 0 offen       // 000000005624: E05C1000 80835027
	buffer_load_dwordx4 a[84:87], v39, s[12:15], 0 offen offset:1024// 00000000562C: E05C1400 80835427
	buffer_load_dwordx4 a[88:91], v40, s[12:15], 0 offen       // 000000005634: E05C1000 80835828
	buffer_load_dwordx4 a[92:95], v40, s[12:15], 0 offen offset:1024// 00000000563C: E05C1400 80835C28
	s_add_u32 s12, s78, s12                                    // 000000005644: 800C0C4E
	s_addc_u32 s13, 0, s13                                     // 000000005648: 820D0D80
	v_mul_f32_dpp v46, v21, v28 row_newbcast:0 row_mask:0xf bank_mask:0xf// 00000000564C: 0A5C38FA FF015015
	v_mov_b32_e32 v47, v46                                     // 000000005654: 7E5E032E
	v_pk_mul_f32 v[160:161], v[46:47], v[160:161]              // 000000005658: D3B140A0 1803412E
	v_pk_mul_f32 v[162:163], v[46:47], v[162:163]              // 000000005660: D3B140A2 1803452E
	v_pk_mul_f32 v[164:165], v[46:47], v[164:165]              // 000000005668: D3B140A4 1803492E
	v_pk_mul_f32 v[166:167], v[46:47], v[166:167]              // 000000005670: D3B140A6 18034D2E
	v_mul_f32_dpp v46, v21, v28 row_newbcast:1 row_mask:0xf bank_mask:0xf// 000000005678: 0A5C38FA FF015115
	v_mov_b32_e32 v47, v46                                     // 000000005680: 7E5E032E
	v_pk_mul_f32 v[168:169], v[46:47], v[168:169]              // 000000005684: D3B140A8 1803512E
	v_pk_mul_f32 v[170:171], v[46:47], v[170:171]              // 00000000568C: D3B140AA 1803552E
	v_pk_mul_f32 v[172:173], v[46:47], v[172:173]              // 000000005694: D3B140AC 1803592E
	v_pk_mul_f32 v[174:175], v[46:47], v[174:175]              // 00000000569C: D3B140AE 18035D2E
	s_waitcnt vmcnt(29)                                        // 0000000056A4: BF8C4F7D
	v_mfma_f32_16x16x128_f8f6f4 v[144:147], a[160:167], v[136:143], 0// 0000000056A8: D3AD0090 0A0311A0
	ds_write_b64 v4, v[176:177] offset:29184                   // 0000000056B0: D89A7200 0000B004
	ds_write_b64 v4, v[178:179] offset:31360                   // 0000000056B8: D89A7A80 0000B204
	ds_write_b64 v4, v[180:181] offset:33536                   // 0000000056C0: D89A8300 0000B404
	ds_write_b64 v4, v[182:183] offset:35712                   // 0000000056C8: D89A8B80 0000B604
	v_mfma_f32_16x16x128_f8f6f4 v[148:151], a[168:175], v[136:143], 0// 0000000056D0: D3AD0094 0A0311A8
	buffer_load_dwordx4 a[96:99], v37, s[12:15], 0 offen       // 0000000056D8: E05C1000 80836025
	buffer_load_dwordx4 a[100:103], v37, s[12:15], 0 offen offset:1024// 0000000056E0: E05C1400 80836425
	buffer_load_dwordx4 a[104:107], v38, s[12:15], 0 offen     // 0000000056E8: E05C1000 80836826
	buffer_load_dwordx4 a[108:111], v38, s[12:15], 0 offen offset:1024// 0000000056F0: E05C1400 80836C26
	s_waitcnt vmcnt(29)                                        // 0000000056F8: BF8C4F7D
	v_mfma_f32_16x16x128_f8f6f4 v[152:155], a[176:183], v[136:143], 0// 0000000056FC: D3AD0098 0A0311B0
	v_mfma_f32_16x16x128_f8f6f4 v[156:159], a[184:191], v[136:143], 0// 000000005704: D3AD009C 0A0311B8
	buffer_load_dwordx4 a[112:115], v39, s[12:15], 0 offen     // 00000000570C: E05C1000 80837027
	buffer_load_dwordx4 a[116:119], v39, s[12:15], 0 offen offset:1024// 000000005714: E05C1400 80837427
	buffer_load_dwordx4 a[120:123], v40, s[12:15], 0 offen     // 00000000571C: E05C1000 80837828
	buffer_load_dwordx4 a[124:127], v40, s[12:15], 0 offen offset:1024// 000000005724: E05C1400 80837C28
	v_mul_f32_dpp v46, v21, v29 row_newbcast:2 row_mask:0xf bank_mask:0xf// 00000000572C: 0A5C3AFA FF015215
	v_mov_b32_e32 v47, v46                                     // 000000005734: 7E5E032E
	v_pk_fma_f32 v[160:161], v[144:145], v[46:47], v[160:161]  // 000000005738: D3B040A0 1E825D90
	v_pk_fma_f32 v[162:163], v[146:147], v[46:47], v[162:163]  // 000000005740: D3B040A2 1E8A5D92
	v_pk_fma_f32 v[164:165], v[148:149], v[46:47], v[164:165]  // 000000005748: D3B040A4 1E925D94
	v_pk_fma_f32 v[166:167], v[150:151], v[46:47], v[166:167]  // 000000005750: D3B040A6 1E9A5D96
	v_mul_f32_dpp v46, v21, v29 row_newbcast:3 row_mask:0xf bank_mask:0xf// 000000005758: 0A5C3AFA FF015315
	v_mov_b32_e32 v47, v46                                     // 000000005760: 7E5E032E
	v_pk_fma_f32 v[168:169], v[152:153], v[46:47], v[168:169]  // 000000005764: D3B040A8 1EA25D98
	v_pk_fma_f32 v[170:171], v[154:155], v[46:47], v[170:171]  // 00000000576C: D3B040AA 1EAA5D9A
	v_pk_fma_f32 v[172:173], v[156:157], v[46:47], v[172:173]  // 000000005774: D3B040AC 1EB25D9C
	v_pk_fma_f32 v[174:175], v[158:159], v[46:47], v[174:175]  // 00000000577C: D3B040AE 1EBA5D9E
	s_add_u32 s60, 0x300, s80                                  // 000000005784: 803C50FF 00000300
	s_cmp_lt_u32 s60, s81                                      // 00000000578C: BF0A513C
	s_cselect_b32 s56, s56, 0                                  // 000000005790: 85388038
	s_cselect_b32 s78, s78, 0                                  // 000000005794: 854E804E
	s_cselect_b32 s79, s79, 0                                  // 000000005798: 854F804F
	s_add_u32 s12, s56, s12                                    // 00000000579C: 800C0C38
	s_addc_u32 s13, 0, s13                                     // 0000000057A0: 820D0D80
	s_add_u32 s16, s79, s16                                    // 0000000057A4: 8010104F
	s_addc_u32 s17, 0, s17                                     // 0000000057A8: 82111180
	v_mov_b32_e32 v46, v23                                     // 0000000057AC: 7E5C0317
	v_mov_b32_e32 v47, v23                                     // 0000000057B0: 7E5E0317
	v_pk_mul_f32 v[160:161], v[46:47], v[160:161]              // 0000000057B4: D3B140A0 1803412E
	v_pk_mul_f32 v[162:163], v[46:47], v[162:163]              // 0000000057BC: D3B140A2 1803452E
	v_pk_mul_f32 v[164:165], v[46:47], v[164:165]              // 0000000057C4: D3B140A4 1803492E
	v_pk_mul_f32 v[166:167], v[46:47], v[166:167]              // 0000000057CC: D3B140A6 18034D2E
	v_pk_mul_f32 v[168:169], v[46:47], v[168:169]              // 0000000057D4: D3B140A8 1803512E
	v_pk_mul_f32 v[170:171], v[46:47], v[170:171]              // 0000000057DC: D3B140AA 1803552E
	v_pk_mul_f32 v[172:173], v[46:47], v[172:173]              // 0000000057E4: D3B140AC 1803592E
	v_pk_mul_f32 v[174:175], v[46:47], v[174:175]              // 0000000057EC: D3B140AE 18035D2E
	v_cvt_pk_bf16_f32 v160, v160, v161                         // 0000000057F4: D26800A0 000343A0
	v_cvt_pk_bf16_f32 v161, v162, v163                         // 0000000057FC: D26800A1 000347A2
	v_cvt_pk_bf16_f32 v162, v164, v165                         // 000000005804: D26800A2 00034BA4
	v_cvt_pk_bf16_f32 v163, v166, v167                         // 00000000580C: D26800A3 00034FA6
	v_cvt_pk_bf16_f32 v164, v168, v169                         // 000000005814: D26800A4 000353A8
	v_cvt_pk_bf16_f32 v165, v170, v171                         // 00000000581C: D26800A5 000357AA
	v_cvt_pk_bf16_f32 v166, v172, v173                         // 000000005824: D26800A6 00035BAC
	v_cvt_pk_bf16_f32 v167, v174, v175                         // 00000000582C: D26800A7 00035FAE
	s_cmp_ge_u32 s80, 0x200                                    // 000000005834: BF09FF50 00000200
	s_cselect_b32 s59, 0x200, s59                              // 00000000583C: 853B3BFF 00000200
	s_waitcnt lgkmcnt(0)                                       // 000000005844: BF8CC07F
	s_barrier                                                  // 000000005848: BF8A0000
	s_setvskip s20, 0                                          // 00000000584C: BF108014
	global_atomic_pk_add_bf16 v80, v64, s[8:9]                 // 000000005850: DD488000 00084050
	s_setvskip 0, 0                                            // 000000005858: BF108080
	s_setvskip s20, 0                                          // 00000000585C: BF108014
	global_atomic_pk_add_bf16 v80, v65, s[8:9] offset:256      // 000000005860: DD488100 00084150
	s_setvskip 0, 0                                            // 000000005868: BF108080
	s_setvskip s20, 1                                          // 00000000586C: BF108114
	global_atomic_pk_add_bf16 v82, v66, s[8:9]                 // 000000005870: DD488000 00084252
	s_setvskip 0, 0                                            // 000000005878: BF108080
	s_setvskip s20, 1                                          // 00000000587C: BF108114
	global_atomic_pk_add_bf16 v82, v67, s[8:9] offset:256      // 000000005880: DD488100 00084352
	s_setvskip 0, 0                                            // 000000005888: BF108080
	s_setvskip s20, 2                                          // 00000000588C: BF108214
	global_atomic_pk_add_bf16 v84, v68, s[8:9]                 // 000000005890: DD488000 00084454
	s_setvskip 0, 0                                            // 000000005898: BF108080
	s_setvskip s20, 2                                          // 00000000589C: BF108214
	global_atomic_pk_add_bf16 v84, v69, s[8:9] offset:256      // 0000000058A0: DD488100 00084554
	s_setvskip 0, 0                                            // 0000000058A8: BF108080
	s_setvskip s20, 3                                          // 0000000058AC: BF108314
	global_atomic_pk_add_bf16 v86, v70, s[8:9]                 // 0000000058B0: DD488000 00084656
	s_setvskip 0, 0                                            // 0000000058B8: BF108080
	s_setvskip s20, 3                                          // 0000000058BC: BF108314
	global_atomic_pk_add_bf16 v86, v71, s[8:9] offset:256      // 0000000058C0: DD488100 00084756
	s_setvskip 0, 0                                            // 0000000058C8: BF108080
	s_add_u32 s8, s59, s8                                      // 0000000058CC: 8008083B
	s_addc_u32 s9, 0, s9                                       // 0000000058D0: 82090980
	s_addk_i32 s80, 0x100                                      // 0000000058D4: B7500100
	s_cmp_lt_i32 s80, s81                                      // 0000000058D8: BF045150
	s_cbranch_scc0 label_0D35                                  // 0000000058DC: BF84027D
	s_waitcnt vmcnt(29) lgkmcnt(0)                             // 0000000058E0: BF8C407D
	s_barrier                                                  // 0000000058E4: BF8A0000
	v_mfma_f32_16x16x128_f8f6f4 v[176:179], a[0:7], v[128:135], 0// 0000000058E8: D3AD00B0 0A030100
	ds_read_b32 v64, v5 offset:29184                           // 0000000058F0: D86C7200 40000005
	ds_read_b32 v65, v5 offset:33536                           // 0000000058F8: D86C8300 41000005
	ds_read_b32 v66, v5 offset:29192                           // 000000005900: D86C7208 42000005
	ds_read_b32 v67, v5 offset:33544                           // 000000005908: D86C8308 43000005
	ds_read_b32 v68, v5 offset:29216                           // 000000005910: D86C7220 44000005
	ds_read_b32 v69, v5 offset:33568                           // 000000005918: D86C8320 45000005
	ds_read_b32 v70, v5 offset:29224                           // 000000005920: D86C7228 46000005
	ds_read_b32 v71, v5 offset:33576                           // 000000005928: D86C8328 47000005
	v_mfma_f32_16x16x128_f8f6f4 v[180:183], a[8:15], v[128:135], 0// 000000005930: D3AD00B4 0A030108
	buffer_load_dword v21, v6, s[16:19], 0 offen               // 000000005938: E0501000 80041506
	buffer_load_dwordx4 a[128:131], v37, s[12:15], 0 offen     // 000000005940: E05C1000 80838025
	buffer_load_dwordx4 a[132:135], v37, s[12:15], 0 offen offset:1024// 000000005948: E05C1400 80838425
	buffer_load_dwordx4 a[136:139], v38, s[12:15], 0 offen     // 000000005950: E05C1000 80838826
	buffer_load_dwordx4 a[140:143], v38, s[12:15], 0 offen offset:1024// 000000005958: E05C1400 80838C26
	s_waitcnt vmcnt(29)                                        // 000000005960: BF8C4F7D
	v_mfma_f32_16x16x128_f8f6f4 v[184:187], a[16:23], v[128:135], 0// 000000005964: D3AD00B8 0A030110
	v_mfma_f32_16x16x128_f8f6f4 v[188:191], a[24:31], v[128:135], 0// 00000000596C: D3AD00BC 0A030118
	buffer_load_dwordx4 a[144:147], v39, s[12:15], 0 offen     // 000000005974: E05C1000 80839027
	buffer_load_dwordx4 a[148:151], v39, s[12:15], 0 offen offset:1024// 00000000597C: E05C1400 80839427
	buffer_load_dwordx4 a[152:155], v40, s[12:15], 0 offen     // 000000005984: E05C1000 80839828
	buffer_load_dwordx4 a[156:159], v40, s[12:15], 0 offen offset:1024// 00000000598C: E05C1400 80839C28
	s_add_u32 s12, s78, s12                                    // 000000005994: 800C0C4E
	s_addc_u32 s13, 0, s13                                     // 000000005998: 820D0D80
	v_mul_f32_dpp v46, v19, v28 row_newbcast:0 row_mask:0xf bank_mask:0xf// 00000000599C: 0A5C38FA FF015013
	v_mov_b32_e32 v47, v46                                     // 0000000059A4: 7E5E032E
	v_pk_mul_f32 v[176:177], v[46:47], v[176:177]              // 0000000059A8: D3B140B0 1803612E
	v_pk_mul_f32 v[178:179], v[46:47], v[178:179]              // 0000000059B0: D3B140B2 1803652E
	v_pk_mul_f32 v[180:181], v[46:47], v[180:181]              // 0000000059B8: D3B140B4 1803692E
	v_pk_mul_f32 v[182:183], v[46:47], v[182:183]              // 0000000059C0: D3B140B6 18036D2E
	v_mul_f32_dpp v46, v19, v28 row_newbcast:1 row_mask:0xf bank_mask:0xf// 0000000059C8: 0A5C38FA FF015113
	v_mov_b32_e32 v47, v46                                     // 0000000059D0: 7E5E032E
	v_pk_mul_f32 v[184:185], v[46:47], v[184:185]              // 0000000059D4: D3B140B8 1803712E
	v_pk_mul_f32 v[186:187], v[46:47], v[186:187]              // 0000000059DC: D3B140BA 1803752E
	v_pk_mul_f32 v[188:189], v[46:47], v[188:189]              // 0000000059E4: D3B140BC 1803792E
	v_pk_mul_f32 v[190:191], v[46:47], v[190:191]              // 0000000059EC: D3B140BE 18037D2E
	s_waitcnt vmcnt(29)                                        // 0000000059F4: BF8C4F7D
	v_mfma_f32_16x16x128_f8f6f4 v[144:147], a[32:39], v[136:143], 0// 0000000059F8: D3AD0090 0A031120
	ds_write_b64 v4, v[160:161] offset:11776                   // 000000005A00: D89A2E00 0000A004
	ds_write_b64 v4, v[162:163] offset:13952                   // 000000005A08: D89A3680 0000A204
	ds_write_b64 v4, v[164:165] offset:16128                   // 000000005A10: D89A3F00 0000A404
	ds_write_b64 v4, v[166:167] offset:18304                   // 000000005A18: D89A4780 0000A604
	v_mfma_f32_16x16x128_f8f6f4 v[148:151], a[40:47], v[136:143], 0// 000000005A20: D3AD0094 0A031128
	buffer_load_dwordx4 a[160:163], v37, s[12:15], 0 offen     // 000000005A28: E05C1000 8083A025
	buffer_load_dwordx4 a[164:167], v37, s[12:15], 0 offen offset:1024// 000000005A30: E05C1400 8083A425
	buffer_load_dwordx4 a[168:171], v38, s[12:15], 0 offen     // 000000005A38: E05C1000 8083A826
	buffer_load_dwordx4 a[172:175], v38, s[12:15], 0 offen offset:1024// 000000005A40: E05C1400 8083AC26
	s_waitcnt vmcnt(29)                                        // 000000005A48: BF8C4F7D
	v_mfma_f32_16x16x128_f8f6f4 v[152:155], a[48:55], v[136:143], 0// 000000005A4C: D3AD0098 0A031130
	v_mfma_f32_16x16x128_f8f6f4 v[156:159], a[56:63], v[136:143], 0// 000000005A54: D3AD009C 0A031138
	buffer_load_dwordx4 a[176:179], v39, s[12:15], 0 offen     // 000000005A5C: E05C1000 8083B027
	buffer_load_dwordx4 a[180:183], v39, s[12:15], 0 offen offset:1024// 000000005A64: E05C1400 8083B427
	buffer_load_dwordx4 a[184:187], v40, s[12:15], 0 offen     // 000000005A6C: E05C1000 8083B828
	buffer_load_dwordx4 a[188:191], v40, s[12:15], 0 offen offset:1024// 000000005A74: E05C1400 8083BC28
	v_mul_f32_dpp v46, v19, v29 row_newbcast:2 row_mask:0xf bank_mask:0xf// 000000005A7C: 0A5C3AFA FF015213
	v_mov_b32_e32 v47, v46                                     // 000000005A84: 7E5E032E
	v_pk_fma_f32 v[176:177], v[144:145], v[46:47], v[176:177]  // 000000005A88: D3B040B0 1EC25D90
	v_pk_fma_f32 v[178:179], v[146:147], v[46:47], v[178:179]  // 000000005A90: D3B040B2 1ECA5D92
	v_pk_fma_f32 v[180:181], v[148:149], v[46:47], v[180:181]  // 000000005A98: D3B040B4 1ED25D94
	v_pk_fma_f32 v[182:183], v[150:151], v[46:47], v[182:183]  // 000000005AA0: D3B040B6 1EDA5D96
	v_mul_f32_dpp v46, v19, v29 row_newbcast:3 row_mask:0xf bank_mask:0xf// 000000005AA8: 0A5C3AFA FF015313
	v_mov_b32_e32 v47, v46                                     // 000000005AB0: 7E5E032E
	v_pk_fma_f32 v[184:185], v[152:153], v[46:47], v[184:185]  // 000000005AB4: D3B040B8 1EE25D98
	v_pk_fma_f32 v[186:187], v[154:155], v[46:47], v[186:187]  // 000000005ABC: D3B040BA 1EEA5D9A
	v_pk_fma_f32 v[188:189], v[156:157], v[46:47], v[188:189]  // 000000005AC4: D3B040BC 1EF25D9C
	v_pk_fma_f32 v[190:191], v[158:159], v[46:47], v[190:191]  // 000000005ACC: D3B040BE 1EFA5D9E
	s_add_u32 s60, 0x300, s80                                  // 000000005AD4: 803C50FF 00000300
	s_cmp_lt_u32 s60, s81                                      // 000000005ADC: BF0A513C
	s_cselect_b32 s56, s56, 0                                  // 000000005AE0: 85388038
	s_cselect_b32 s78, s78, 0                                  // 000000005AE4: 854E804E
	s_cselect_b32 s79, s79, 0                                  // 000000005AE8: 854F804F
	s_add_u32 s12, s56, s12                                    // 000000005AEC: 800C0C38
	s_addc_u32 s13, 0, s13                                     // 000000005AF0: 820D0D80
	s_add_u32 s16, s79, s16                                    // 000000005AF4: 8010104F
	s_addc_u32 s17, 0, s17                                     // 000000005AF8: 82111180
	v_mov_b32_e32 v46, v23                                     // 000000005AFC: 7E5C0317
	v_mov_b32_e32 v47, v23                                     // 000000005B00: 7E5E0317
	v_pk_mul_f32 v[176:177], v[46:47], v[176:177]              // 000000005B04: D3B140B0 1803612E
	v_pk_mul_f32 v[178:179], v[46:47], v[178:179]              // 000000005B0C: D3B140B2 1803652E
	v_pk_mul_f32 v[180:181], v[46:47], v[180:181]              // 000000005B14: D3B140B4 1803692E
	v_pk_mul_f32 v[182:183], v[46:47], v[182:183]              // 000000005B1C: D3B140B6 18036D2E
	v_pk_mul_f32 v[184:185], v[46:47], v[184:185]              // 000000005B24: D3B140B8 1803712E
	v_pk_mul_f32 v[186:187], v[46:47], v[186:187]              // 000000005B2C: D3B140BA 1803752E
	v_pk_mul_f32 v[188:189], v[46:47], v[188:189]              // 000000005B34: D3B140BC 1803792E
	v_pk_mul_f32 v[190:191], v[46:47], v[190:191]              // 000000005B3C: D3B140BE 18037D2E
	v_cvt_pk_bf16_f32 v176, v176, v177                         // 000000005B44: D26800B0 000363B0
	v_cvt_pk_bf16_f32 v177, v178, v179                         // 000000005B4C: D26800B1 000367B2
	v_cvt_pk_bf16_f32 v178, v180, v181                         // 000000005B54: D26800B2 00036BB4
	v_cvt_pk_bf16_f32 v179, v182, v183                         // 000000005B5C: D26800B3 00036FB6
	v_cvt_pk_bf16_f32 v180, v184, v185                         // 000000005B64: D26800B4 000373B8
	v_cvt_pk_bf16_f32 v181, v186, v187                         // 000000005B6C: D26800B5 000377BA
	v_cvt_pk_bf16_f32 v182, v188, v189                         // 000000005B74: D26800B6 00037BBC
	v_cvt_pk_bf16_f32 v183, v190, v191                         // 000000005B7C: D26800B7 00037FBE
	s_cmp_ge_u32 s80, 0x200                                    // 000000005B84: BF09FF50 00000200
	s_cselect_b32 s59, 0x200, s59                              // 000000005B8C: 853B3BFF 00000200
	s_waitcnt lgkmcnt(0)                                       // 000000005B94: BF8CC07F
	s_barrier                                                  // 000000005B98: BF8A0000
	s_setvskip s20, 0                                          // 000000005B9C: BF108014
	global_atomic_pk_add_bf16 v80, v64, s[8:9]                 // 000000005BA0: DD488000 00084050
	s_setvskip 0, 0                                            // 000000005BA8: BF108080
	s_setvskip s20, 0                                          // 000000005BAC: BF108014
	global_atomic_pk_add_bf16 v80, v65, s[8:9] offset:256      // 000000005BB0: DD488100 00084150
	s_setvskip 0, 0                                            // 000000005BB8: BF108080
	s_setvskip s20, 1                                          // 000000005BBC: BF108114
	global_atomic_pk_add_bf16 v82, v66, s[8:9]                 // 000000005BC0: DD488000 00084252
	s_setvskip 0, 0                                            // 000000005BC8: BF108080
	s_setvskip s20, 1                                          // 000000005BCC: BF108114
	global_atomic_pk_add_bf16 v82, v67, s[8:9] offset:256      // 000000005BD0: DD488100 00084352
	s_setvskip 0, 0                                            // 000000005BD8: BF108080
	s_setvskip s20, 2                                          // 000000005BDC: BF108214
	global_atomic_pk_add_bf16 v84, v68, s[8:9]                 // 000000005BE0: DD488000 00084454
	s_setvskip 0, 0                                            // 000000005BE8: BF108080
	s_setvskip s20, 2                                          // 000000005BEC: BF108214
	global_atomic_pk_add_bf16 v84, v69, s[8:9] offset:256      // 000000005BF0: DD488100 00084554
	s_setvskip 0, 0                                            // 000000005BF8: BF108080
	s_setvskip s20, 3                                          // 000000005BFC: BF108314
	global_atomic_pk_add_bf16 v86, v70, s[8:9]                 // 000000005C00: DD488000 00084656
	s_setvskip 0, 0                                            // 000000005C08: BF108080
	s_setvskip s20, 3                                          // 000000005C0C: BF108314
	global_atomic_pk_add_bf16 v86, v71, s[8:9] offset:256      // 000000005C10: DD488100 00084756
	s_setvskip 0, 0                                            // 000000005C18: BF108080
	s_add_u32 s8, s59, s8                                      // 000000005C1C: 8008083B
	s_addc_u32 s9, 0, s9                                       // 000000005C20: 82090980
	s_addk_i32 s80, 0x100                                      // 000000005C24: B7500100
	s_cmp_lt_i32 s80, s81                                      // 000000005C28: BF045150
	s_cbranch_scc0 label_0D35                                  // 000000005C2C: BF8401A9
	s_waitcnt vmcnt(29) lgkmcnt(0)                             // 000000005C30: BF8C407D
	s_barrier                                                  // 000000005C34: BF8A0000
	v_mfma_f32_16x16x128_f8f6f4 v[160:163], a[64:71], v[128:135], 0// 000000005C38: D3AD00A0 0A030140
	ds_read_b32 v64, v5 offset:11776                           // 000000005C40: D86C2E00 40000005
	ds_read_b32 v65, v5 offset:16128                           // 000000005C48: D86C3F00 41000005
	ds_read_b32 v66, v5 offset:11784                           // 000000005C50: D86C2E08 42000005
	ds_read_b32 v67, v5 offset:16136                           // 000000005C58: D86C3F08 43000005
	ds_read_b32 v68, v5 offset:11808                           // 000000005C60: D86C2E20 44000005
	ds_read_b32 v69, v5 offset:16160                           // 000000005C68: D86C3F20 45000005
	ds_read_b32 v70, v5 offset:11816                           // 000000005C70: D86C2E28 46000005
	ds_read_b32 v71, v5 offset:16168                           // 000000005C78: D86C3F28 47000005
	v_mfma_f32_16x16x128_f8f6f4 v[164:167], a[72:79], v[128:135], 0// 000000005C80: D3AD00A4 0A030148
	buffer_load_dword v19, v6, s[16:19], 0 offen               // 000000005C88: E0501000 80041306
	buffer_load_dwordx4 a[0:3], v37, s[12:15], 0 offen         // 000000005C90: E05C1000 80830025
	buffer_load_dwordx4 a[4:7], v37, s[12:15], 0 offen offset:1024// 000000005C98: E05C1400 80830425
	buffer_load_dwordx4 a[8:11], v38, s[12:15], 0 offen        // 000000005CA0: E05C1000 80830826
	buffer_load_dwordx4 a[12:15], v38, s[12:15], 0 offen offset:1024// 000000005CA8: E05C1400 80830C26
	s_waitcnt vmcnt(29)                                        // 000000005CB0: BF8C4F7D
	v_mfma_f32_16x16x128_f8f6f4 v[168:171], a[80:87], v[128:135], 0// 000000005CB4: D3AD00A8 0A030150
	v_mfma_f32_16x16x128_f8f6f4 v[172:175], a[88:95], v[128:135], 0// 000000005CBC: D3AD00AC 0A030158
	buffer_load_dwordx4 a[16:19], v39, s[12:15], 0 offen       // 000000005CC4: E05C1000 80831027
	buffer_load_dwordx4 a[20:23], v39, s[12:15], 0 offen offset:1024// 000000005CCC: E05C1400 80831427
	buffer_load_dwordx4 a[24:27], v40, s[12:15], 0 offen       // 000000005CD4: E05C1000 80831828
	buffer_load_dwordx4 a[28:31], v40, s[12:15], 0 offen offset:1024// 000000005CDC: E05C1400 80831C28
	s_add_u32 s12, s78, s12                                    // 000000005CE4: 800C0C4E
	s_addc_u32 s13, 0, s13                                     // 000000005CE8: 820D0D80
	v_mul_f32_dpp v46, v20, v28 row_newbcast:0 row_mask:0xf bank_mask:0xf// 000000005CEC: 0A5C38FA FF015014
	v_mov_b32_e32 v47, v46                                     // 000000005CF4: 7E5E032E
	v_pk_mul_f32 v[160:161], v[46:47], v[160:161]              // 000000005CF8: D3B140A0 1803412E
	v_pk_mul_f32 v[162:163], v[46:47], v[162:163]              // 000000005D00: D3B140A2 1803452E
	v_pk_mul_f32 v[164:165], v[46:47], v[164:165]              // 000000005D08: D3B140A4 1803492E
	v_pk_mul_f32 v[166:167], v[46:47], v[166:167]              // 000000005D10: D3B140A6 18034D2E
	v_mul_f32_dpp v46, v20, v28 row_newbcast:1 row_mask:0xf bank_mask:0xf// 000000005D18: 0A5C38FA FF015114
	v_mov_b32_e32 v47, v46                                     // 000000005D20: 7E5E032E
	v_pk_mul_f32 v[168:169], v[46:47], v[168:169]              // 000000005D24: D3B140A8 1803512E
	v_pk_mul_f32 v[170:171], v[46:47], v[170:171]              // 000000005D2C: D3B140AA 1803552E
	v_pk_mul_f32 v[172:173], v[46:47], v[172:173]              // 000000005D34: D3B140AC 1803592E
	v_pk_mul_f32 v[174:175], v[46:47], v[174:175]              // 000000005D3C: D3B140AE 18035D2E
	s_waitcnt vmcnt(29)                                        // 000000005D44: BF8C4F7D
	v_mfma_f32_16x16x128_f8f6f4 v[144:147], a[96:103], v[136:143], 0// 000000005D48: D3AD0090 0A031160
	ds_write_b64 v4, v[176:177] offset:29184                   // 000000005D50: D89A7200 0000B004
	ds_write_b64 v4, v[178:179] offset:31360                   // 000000005D58: D89A7A80 0000B204
	ds_write_b64 v4, v[180:181] offset:33536                   // 000000005D60: D89A8300 0000B404
	ds_write_b64 v4, v[182:183] offset:35712                   // 000000005D68: D89A8B80 0000B604
	v_mfma_f32_16x16x128_f8f6f4 v[148:151], a[104:111], v[136:143], 0// 000000005D70: D3AD0094 0A031168
	buffer_load_dwordx4 a[32:35], v37, s[12:15], 0 offen       // 000000005D78: E05C1000 80832025
	buffer_load_dwordx4 a[36:39], v37, s[12:15], 0 offen offset:1024// 000000005D80: E05C1400 80832425
	buffer_load_dwordx4 a[40:43], v38, s[12:15], 0 offen       // 000000005D88: E05C1000 80832826
	buffer_load_dwordx4 a[44:47], v38, s[12:15], 0 offen offset:1024// 000000005D90: E05C1400 80832C26
	s_waitcnt vmcnt(29)                                        // 000000005D98: BF8C4F7D
	v_mfma_f32_16x16x128_f8f6f4 v[152:155], a[112:119], v[136:143], 0// 000000005D9C: D3AD0098 0A031170
	v_mfma_f32_16x16x128_f8f6f4 v[156:159], a[120:127], v[136:143], 0// 000000005DA4: D3AD009C 0A031178
	buffer_load_dwordx4 a[48:51], v39, s[12:15], 0 offen       // 000000005DAC: E05C1000 80833027
	buffer_load_dwordx4 a[52:55], v39, s[12:15], 0 offen offset:1024// 000000005DB4: E05C1400 80833427
	buffer_load_dwordx4 a[56:59], v40, s[12:15], 0 offen       // 000000005DBC: E05C1000 80833828
	buffer_load_dwordx4 a[60:63], v40, s[12:15], 0 offen offset:1024// 000000005DC4: E05C1400 80833C28
	v_mul_f32_dpp v46, v20, v29 row_newbcast:2 row_mask:0xf bank_mask:0xf// 000000005DCC: 0A5C3AFA FF015214
	v_mov_b32_e32 v47, v46                                     // 000000005DD4: 7E5E032E
	v_pk_fma_f32 v[160:161], v[144:145], v[46:47], v[160:161]  // 000000005DD8: D3B040A0 1E825D90
	v_pk_fma_f32 v[162:163], v[146:147], v[46:47], v[162:163]  // 000000005DE0: D3B040A2 1E8A5D92
	v_pk_fma_f32 v[164:165], v[148:149], v[46:47], v[164:165]  // 000000005DE8: D3B040A4 1E925D94
	v_pk_fma_f32 v[166:167], v[150:151], v[46:47], v[166:167]  // 000000005DF0: D3B040A6 1E9A5D96
	v_mul_f32_dpp v46, v20, v29 row_newbcast:3 row_mask:0xf bank_mask:0xf// 000000005DF8: 0A5C3AFA FF015314
	v_mov_b32_e32 v47, v46                                     // 000000005E00: 7E5E032E
	v_pk_fma_f32 v[168:169], v[152:153], v[46:47], v[168:169]  // 000000005E04: D3B040A8 1EA25D98
	v_pk_fma_f32 v[170:171], v[154:155], v[46:47], v[170:171]  // 000000005E0C: D3B040AA 1EAA5D9A
	v_pk_fma_f32 v[172:173], v[156:157], v[46:47], v[172:173]  // 000000005E14: D3B040AC 1EB25D9C
	v_pk_fma_f32 v[174:175], v[158:159], v[46:47], v[174:175]  // 000000005E1C: D3B040AE 1EBA5D9E
	s_add_u32 s60, 0x300, s80                                  // 000000005E24: 803C50FF 00000300
	s_cmp_lt_u32 s60, s81                                      // 000000005E2C: BF0A513C
	s_cselect_b32 s56, s56, 0                                  // 000000005E30: 85388038
	s_cselect_b32 s78, s78, 0                                  // 000000005E34: 854E804E
	s_cselect_b32 s79, s79, 0                                  // 000000005E38: 854F804F
	s_add_u32 s12, s56, s12                                    // 000000005E3C: 800C0C38
	s_addc_u32 s13, 0, s13                                     // 000000005E40: 820D0D80
	s_add_u32 s16, s79, s16                                    // 000000005E44: 8010104F
	s_addc_u32 s17, 0, s17                                     // 000000005E48: 82111180
	v_mov_b32_e32 v46, v23                                     // 000000005E4C: 7E5C0317
	v_mov_b32_e32 v47, v23                                     // 000000005E50: 7E5E0317
	v_pk_mul_f32 v[160:161], v[46:47], v[160:161]              // 000000005E54: D3B140A0 1803412E
	v_pk_mul_f32 v[162:163], v[46:47], v[162:163]              // 000000005E5C: D3B140A2 1803452E
	v_pk_mul_f32 v[164:165], v[46:47], v[164:165]              // 000000005E64: D3B140A4 1803492E
	v_pk_mul_f32 v[166:167], v[46:47], v[166:167]              // 000000005E6C: D3B140A6 18034D2E
	v_pk_mul_f32 v[168:169], v[46:47], v[168:169]              // 000000005E74: D3B140A8 1803512E
	v_pk_mul_f32 v[170:171], v[46:47], v[170:171]              // 000000005E7C: D3B140AA 1803552E
	v_pk_mul_f32 v[172:173], v[46:47], v[172:173]              // 000000005E84: D3B140AC 1803592E
	v_pk_mul_f32 v[174:175], v[46:47], v[174:175]              // 000000005E8C: D3B140AE 18035D2E
	v_cvt_pk_bf16_f32 v160, v160, v161                         // 000000005E94: D26800A0 000343A0
	v_cvt_pk_bf16_f32 v161, v162, v163                         // 000000005E9C: D26800A1 000347A2
	v_cvt_pk_bf16_f32 v162, v164, v165                         // 000000005EA4: D26800A2 00034BA4
	v_cvt_pk_bf16_f32 v163, v166, v167                         // 000000005EAC: D26800A3 00034FA6
	v_cvt_pk_bf16_f32 v164, v168, v169                         // 000000005EB4: D26800A4 000353A8
	v_cvt_pk_bf16_f32 v165, v170, v171                         // 000000005EBC: D26800A5 000357AA
	v_cvt_pk_bf16_f32 v166, v172, v173                         // 000000005EC4: D26800A6 00035BAC
	v_cvt_pk_bf16_f32 v167, v174, v175                         // 000000005ECC: D26800A7 00035FAE
	s_cmp_ge_u32 s80, 0x200                                    // 000000005ED4: BF09FF50 00000200
	s_cselect_b32 s59, 0x200, s59                              // 000000005EDC: 853B3BFF 00000200
	s_waitcnt lgkmcnt(0)                                       // 000000005EE4: BF8CC07F
	s_barrier                                                  // 000000005EE8: BF8A0000
	s_setvskip s20, 0                                          // 000000005EEC: BF108014
	global_atomic_pk_add_bf16 v80, v64, s[8:9]                 // 000000005EF0: DD488000 00084050
	s_setvskip 0, 0                                            // 000000005EF8: BF108080
	s_setvskip s20, 0                                          // 000000005EFC: BF108014
	global_atomic_pk_add_bf16 v80, v65, s[8:9] offset:256      // 000000005F00: DD488100 00084150
	s_setvskip 0, 0                                            // 000000005F08: BF108080
	s_setvskip s20, 1                                          // 000000005F0C: BF108114
	global_atomic_pk_add_bf16 v82, v66, s[8:9]                 // 000000005F10: DD488000 00084252
	s_setvskip 0, 0                                            // 000000005F18: BF108080
	s_setvskip s20, 1                                          // 000000005F1C: BF108114
	global_atomic_pk_add_bf16 v82, v67, s[8:9] offset:256      // 000000005F20: DD488100 00084352
	s_setvskip 0, 0                                            // 000000005F28: BF108080
	s_setvskip s20, 2                                          // 000000005F2C: BF108214
	global_atomic_pk_add_bf16 v84, v68, s[8:9]                 // 000000005F30: DD488000 00084454
	s_setvskip 0, 0                                            // 000000005F38: BF108080
	s_setvskip s20, 2                                          // 000000005F3C: BF108214
	global_atomic_pk_add_bf16 v84, v69, s[8:9] offset:256      // 000000005F40: DD488100 00084554
	s_setvskip 0, 0                                            // 000000005F48: BF108080
	s_setvskip s20, 3                                          // 000000005F4C: BF108314
	global_atomic_pk_add_bf16 v86, v70, s[8:9]                 // 000000005F50: DD488000 00084656
	s_setvskip 0, 0                                            // 000000005F58: BF108080
	s_setvskip s20, 3                                          // 000000005F5C: BF108314
	global_atomic_pk_add_bf16 v86, v71, s[8:9] offset:256      // 000000005F60: DD488100 00084756
	s_setvskip 0, 0                                            // 000000005F68: BF108080
	s_add_u32 s8, s59, s8                                      // 000000005F6C: 8008083B
	s_addc_u32 s9, 0, s9                                       // 000000005F70: 82090980
	s_addk_i32 s80, 0x100                                      // 000000005F74: B7500100
	s_cmp_lt_i32 s80, s81                                      // 000000005F78: BF045150
	s_cbranch_scc0 label_0D35                                  // 000000005F7C: BF8400D5
	s_waitcnt vmcnt(29) lgkmcnt(0)                             // 000000005F80: BF8C407D
	s_barrier                                                  // 000000005F84: BF8A0000
	v_mfma_f32_16x16x128_f8f6f4 v[176:179], a[128:135], v[128:135], 0// 000000005F88: D3AD00B0 0A030180
	ds_read_b32 v64, v5 offset:29184                           // 000000005F90: D86C7200 40000005
	ds_read_b32 v65, v5 offset:33536                           // 000000005F98: D86C8300 41000005
	ds_read_b32 v66, v5 offset:29192                           // 000000005FA0: D86C7208 42000005
	ds_read_b32 v67, v5 offset:33544                           // 000000005FA8: D86C8308 43000005
	ds_read_b32 v68, v5 offset:29216                           // 000000005FB0: D86C7220 44000005
	ds_read_b32 v69, v5 offset:33568                           // 000000005FB8: D86C8320 45000005
	ds_read_b32 v70, v5 offset:29224                           // 000000005FC0: D86C7228 46000005
	ds_read_b32 v71, v5 offset:33576                           // 000000005FC8: D86C8328 47000005
	v_mfma_f32_16x16x128_f8f6f4 v[180:183], a[136:143], v[128:135], 0// 000000005FD0: D3AD00B4 0A030188
	buffer_load_dword v20, v6, s[16:19], 0 offen               // 000000005FD8: E0501000 80041406
	buffer_load_dwordx4 a[64:67], v37, s[12:15], 0 offen       // 000000005FE0: E05C1000 80834025
	buffer_load_dwordx4 a[68:71], v37, s[12:15], 0 offen offset:1024// 000000005FE8: E05C1400 80834425
	buffer_load_dwordx4 a[72:75], v38, s[12:15], 0 offen       // 000000005FF0: E05C1000 80834826
	buffer_load_dwordx4 a[76:79], v38, s[12:15], 0 offen offset:1024// 000000005FF8: E05C1400 80834C26
	s_waitcnt vmcnt(29)                                        // 000000006000: BF8C4F7D
	v_mfma_f32_16x16x128_f8f6f4 v[184:187], a[144:151], v[128:135], 0// 000000006004: D3AD00B8 0A030190
	v_mfma_f32_16x16x128_f8f6f4 v[188:191], a[152:159], v[128:135], 0// 00000000600C: D3AD00BC 0A030198
	buffer_load_dwordx4 a[80:83], v39, s[12:15], 0 offen       // 000000006014: E05C1000 80835027
	buffer_load_dwordx4 a[84:87], v39, s[12:15], 0 offen offset:1024// 00000000601C: E05C1400 80835427
	buffer_load_dwordx4 a[88:91], v40, s[12:15], 0 offen       // 000000006024: E05C1000 80835828
	buffer_load_dwordx4 a[92:95], v40, s[12:15], 0 offen offset:1024// 00000000602C: E05C1400 80835C28
	s_add_u32 s12, s78, s12                                    // 000000006034: 800C0C4E
	s_addc_u32 s13, 0, s13                                     // 000000006038: 820D0D80
	v_mul_f32_dpp v46, v21, v28 row_newbcast:0 row_mask:0xf bank_mask:0xf// 00000000603C: 0A5C38FA FF015015
	v_mov_b32_e32 v47, v46                                     // 000000006044: 7E5E032E
	v_pk_mul_f32 v[176:177], v[46:47], v[176:177]              // 000000006048: D3B140B0 1803612E
	v_pk_mul_f32 v[178:179], v[46:47], v[178:179]              // 000000006050: D3B140B2 1803652E
	v_pk_mul_f32 v[180:181], v[46:47], v[180:181]              // 000000006058: D3B140B4 1803692E
	v_pk_mul_f32 v[182:183], v[46:47], v[182:183]              // 000000006060: D3B140B6 18036D2E
	v_mul_f32_dpp v46, v21, v28 row_newbcast:1 row_mask:0xf bank_mask:0xf// 000000006068: 0A5C38FA FF015115
	v_mov_b32_e32 v47, v46                                     // 000000006070: 7E5E032E
	v_pk_mul_f32 v[184:185], v[46:47], v[184:185]              // 000000006074: D3B140B8 1803712E
	v_pk_mul_f32 v[186:187], v[46:47], v[186:187]              // 00000000607C: D3B140BA 1803752E
	v_pk_mul_f32 v[188:189], v[46:47], v[188:189]              // 000000006084: D3B140BC 1803792E
	v_pk_mul_f32 v[190:191], v[46:47], v[190:191]              // 00000000608C: D3B140BE 18037D2E
	s_waitcnt vmcnt(29)                                        // 000000006094: BF8C4F7D
	v_mfma_f32_16x16x128_f8f6f4 v[144:147], a[160:167], v[136:143], 0// 000000006098: D3AD0090 0A0311A0
	ds_write_b64 v4, v[160:161] offset:11776                   // 0000000060A0: D89A2E00 0000A004
	ds_write_b64 v4, v[162:163] offset:13952                   // 0000000060A8: D89A3680 0000A204
	ds_write_b64 v4, v[164:165] offset:16128                   // 0000000060B0: D89A3F00 0000A404
	ds_write_b64 v4, v[166:167] offset:18304                   // 0000000060B8: D89A4780 0000A604
	v_mfma_f32_16x16x128_f8f6f4 v[148:151], a[168:175], v[136:143], 0// 0000000060C0: D3AD0094 0A0311A8
	buffer_load_dwordx4 a[96:99], v37, s[12:15], 0 offen       // 0000000060C8: E05C1000 80836025
	buffer_load_dwordx4 a[100:103], v37, s[12:15], 0 offen offset:1024// 0000000060D0: E05C1400 80836425
	buffer_load_dwordx4 a[104:107], v38, s[12:15], 0 offen     // 0000000060D8: E05C1000 80836826
	buffer_load_dwordx4 a[108:111], v38, s[12:15], 0 offen offset:1024// 0000000060E0: E05C1400 80836C26
	s_waitcnt vmcnt(29)                                        // 0000000060E8: BF8C4F7D
	v_mfma_f32_16x16x128_f8f6f4 v[152:155], a[176:183], v[136:143], 0// 0000000060EC: D3AD0098 0A0311B0
	v_mfma_f32_16x16x128_f8f6f4 v[156:159], a[184:191], v[136:143], 0// 0000000060F4: D3AD009C 0A0311B8
	buffer_load_dwordx4 a[112:115], v39, s[12:15], 0 offen     // 0000000060FC: E05C1000 80837027
	buffer_load_dwordx4 a[116:119], v39, s[12:15], 0 offen offset:1024// 000000006104: E05C1400 80837427
	buffer_load_dwordx4 a[120:123], v40, s[12:15], 0 offen     // 00000000610C: E05C1000 80837828
	buffer_load_dwordx4 a[124:127], v40, s[12:15], 0 offen offset:1024// 000000006114: E05C1400 80837C28
	v_mul_f32_dpp v46, v21, v29 row_newbcast:2 row_mask:0xf bank_mask:0xf// 00000000611C: 0A5C3AFA FF015215
	v_mov_b32_e32 v47, v46                                     // 000000006124: 7E5E032E
	v_pk_fma_f32 v[176:177], v[144:145], v[46:47], v[176:177]  // 000000006128: D3B040B0 1EC25D90
	v_pk_fma_f32 v[178:179], v[146:147], v[46:47], v[178:179]  // 000000006130: D3B040B2 1ECA5D92
	v_pk_fma_f32 v[180:181], v[148:149], v[46:47], v[180:181]  // 000000006138: D3B040B4 1ED25D94
	v_pk_fma_f32 v[182:183], v[150:151], v[46:47], v[182:183]  // 000000006140: D3B040B6 1EDA5D96
	v_mul_f32_dpp v46, v21, v29 row_newbcast:3 row_mask:0xf bank_mask:0xf// 000000006148: 0A5C3AFA FF015315
	v_mov_b32_e32 v47, v46                                     // 000000006150: 7E5E032E
	v_pk_fma_f32 v[184:185], v[152:153], v[46:47], v[184:185]  // 000000006154: D3B040B8 1EE25D98
	v_pk_fma_f32 v[186:187], v[154:155], v[46:47], v[186:187]  // 00000000615C: D3B040BA 1EEA5D9A
	v_pk_fma_f32 v[188:189], v[156:157], v[46:47], v[188:189]  // 000000006164: D3B040BC 1EF25D9C
	v_pk_fma_f32 v[190:191], v[158:159], v[46:47], v[190:191]  // 00000000616C: D3B040BE 1EFA5D9E
	s_add_u32 s60, 0x300, s80                                  // 000000006174: 803C50FF 00000300
	s_cmp_lt_u32 s60, s81                                      // 00000000617C: BF0A513C
	s_cselect_b32 s56, s56, 0                                  // 000000006180: 85388038
	s_cselect_b32 s78, s78, 0                                  // 000000006184: 854E804E
	s_cselect_b32 s79, s79, 0                                  // 000000006188: 854F804F
	s_add_u32 s12, s56, s12                                    // 00000000618C: 800C0C38
	s_addc_u32 s13, 0, s13                                     // 000000006190: 820D0D80
	s_add_u32 s16, s79, s16                                    // 000000006194: 8010104F
	s_addc_u32 s17, 0, s17                                     // 000000006198: 82111180
	v_mov_b32_e32 v46, v23                                     // 00000000619C: 7E5C0317
	v_mov_b32_e32 v47, v23                                     // 0000000061A0: 7E5E0317
	v_pk_mul_f32 v[176:177], v[46:47], v[176:177]              // 0000000061A4: D3B140B0 1803612E
	v_pk_mul_f32 v[178:179], v[46:47], v[178:179]              // 0000000061AC: D3B140B2 1803652E
	v_pk_mul_f32 v[180:181], v[46:47], v[180:181]              // 0000000061B4: D3B140B4 1803692E
	v_pk_mul_f32 v[182:183], v[46:47], v[182:183]              // 0000000061BC: D3B140B6 18036D2E
	v_pk_mul_f32 v[184:185], v[46:47], v[184:185]              // 0000000061C4: D3B140B8 1803712E
	v_pk_mul_f32 v[186:187], v[46:47], v[186:187]              // 0000000061CC: D3B140BA 1803752E
	v_pk_mul_f32 v[188:189], v[46:47], v[188:189]              // 0000000061D4: D3B140BC 1803792E
	v_pk_mul_f32 v[190:191], v[46:47], v[190:191]              // 0000000061DC: D3B140BE 18037D2E
	v_cvt_pk_bf16_f32 v176, v176, v177                         // 0000000061E4: D26800B0 000363B0
	v_cvt_pk_bf16_f32 v177, v178, v179                         // 0000000061EC: D26800B1 000367B2
	v_cvt_pk_bf16_f32 v178, v180, v181                         // 0000000061F4: D26800B2 00036BB4
	v_cvt_pk_bf16_f32 v179, v182, v183                         // 0000000061FC: D26800B3 00036FB6
	v_cvt_pk_bf16_f32 v180, v184, v185                         // 000000006204: D26800B4 000373B8
	v_cvt_pk_bf16_f32 v181, v186, v187                         // 00000000620C: D26800B5 000377BA
	v_cvt_pk_bf16_f32 v182, v188, v189                         // 000000006214: D26800B6 00037BBC
	v_cvt_pk_bf16_f32 v183, v190, v191                         // 00000000621C: D26800B7 00037FBE
	s_cmp_ge_u32 s80, 0x200                                    // 000000006224: BF09FF50 00000200
	s_cselect_b32 s59, 0x200, s59                              // 00000000622C: 853B3BFF 00000200
	s_waitcnt lgkmcnt(0)                                       // 000000006234: BF8CC07F
	s_barrier                                                  // 000000006238: BF8A0000
	s_setvskip s20, 0                                          // 00000000623C: BF108014
	global_atomic_pk_add_bf16 v80, v64, s[8:9]                 // 000000006240: DD488000 00084050
	s_setvskip 0, 0                                            // 000000006248: BF108080
	s_setvskip s20, 0                                          // 00000000624C: BF108014
	global_atomic_pk_add_bf16 v80, v65, s[8:9] offset:256      // 000000006250: DD488100 00084150
	s_setvskip 0, 0                                            // 000000006258: BF108080
	s_setvskip s20, 1                                          // 00000000625C: BF108114
	global_atomic_pk_add_bf16 v82, v66, s[8:9]                 // 000000006260: DD488000 00084252
	s_setvskip 0, 0                                            // 000000006268: BF108080
	s_setvskip s20, 1                                          // 00000000626C: BF108114
	global_atomic_pk_add_bf16 v82, v67, s[8:9] offset:256      // 000000006270: DD488100 00084352
	s_setvskip 0, 0                                            // 000000006278: BF108080
	s_setvskip s20, 2                                          // 00000000627C: BF108214
	global_atomic_pk_add_bf16 v84, v68, s[8:9]                 // 000000006280: DD488000 00084454
	s_setvskip 0, 0                                            // 000000006288: BF108080
	s_setvskip s20, 2                                          // 00000000628C: BF108214
	global_atomic_pk_add_bf16 v84, v69, s[8:9] offset:256      // 000000006290: DD488100 00084554
	s_setvskip 0, 0                                            // 000000006298: BF108080
	s_setvskip s20, 3                                          // 00000000629C: BF108314
	global_atomic_pk_add_bf16 v86, v70, s[8:9]                 // 0000000062A0: DD488000 00084656
	s_setvskip 0, 0                                            // 0000000062A8: BF108080
	s_setvskip s20, 3                                          // 0000000062AC: BF108314
	global_atomic_pk_add_bf16 v86, v71, s[8:9] offset:256      // 0000000062B0: DD488100 00084756
	s_setvskip 0, 0                                            // 0000000062B8: BF108080
	s_add_u32 s8, s59, s8                                      // 0000000062BC: 8008083B
	s_addc_u32 s9, 0, s9                                       // 0000000062C0: 82090980
	s_addk_i32 s80, 0x100                                      // 0000000062C4: B7500100
	s_cmp_lt_i32 s80, s81                                      // 0000000062C8: BF045150
	s_cbranch_scc0 label_0D35                                  // 0000000062CC: BF840001
	s_branch label_083C                                        // 0000000062D0: BF82FB07

00000000000062d4 <label_0D35>:
	s_nop 0                                                    // 0000000062D4: BF800000
	s_nop 0                                                    // 0000000062D8: BF800000
	s_branch label_1739                                        // 0000000062DC: BF820A01

00000000000062e0 <label_0D38>:
	s_waitcnt vmcnt(28) lgkmcnt(0)                             // 0000000062E0: BF8C407C
	s_barrier                                                  // 0000000062E4: BF8A0000
	v_mfma_f32_16x16x128_f8f6f4 v[144:147], a[0:7], v[160:167], 0// 0000000062E8: D3AD0090 0A034100
	buffer_load_dwordx4 v[176:179], v31, s[20:23], 0 offen     // 0000000062F0: E05C1000 8005B01F
	buffer_load_dwordx4 v[180:183], v31, s[20:23], 0 offen offset:16// 0000000062F8: E05C1010 8005B41F
	buffer_load_dword v20, v11, s[32:35], 0 offen              // 000000006300: E0501000 8008140B
	buffer_load_dword v22, v13, s[32:35], 0 offen              // 000000006308: E0501000 8008160D
	buffer_load_dwordx4 a[128:131], v33, s[24:27], 0 offen     // 000000006310: E05C1000 80868021
	buffer_load_dwordx4 a[132:135], v33, s[24:27], 0 offen offset:1024// 000000006318: E05C1400 80868421
	buffer_load_dwordx4 a[136:139], v34, s[24:27], 0 offen     // 000000006320: E05C1000 80868822
	buffer_load_dwordx4 a[140:143], v34, s[24:27], 0 offen offset:1024// 000000006328: E05C1400 80868C22
	v_mfma_f32_16x16x128_f8f6f4 v[148:151], a[8:15], v[160:167], 0// 000000006330: D3AD0094 0A034108
	s_waitcnt vmcnt(20)                                        // 000000006338: BF8C4F74
	v_mfma_f32_16x16x128_f8f6f4 v[152:155], a[16:23], v[160:167], 0// 00000000633C: D3AD0098 0A034110
	buffer_load_dwordx4 a[144:147], v35, s[24:27], 0 offen     // 000000006344: E05C1000 80869023
	buffer_load_dwordx4 a[148:151], v35, s[24:27], 0 offen offset:1024// 00000000634C: E05C1400 80869423
	buffer_load_dwordx4 a[152:155], v36, s[24:27], 0 offen     // 000000006354: E05C1000 80869824
	buffer_load_dwordx4 a[156:159], v36, s[24:27], 0 offen offset:1024// 00000000635C: E05C1400 80869C24
	v_mfma_f32_16x16x128_f8f6f4 v[156:159], a[24:31], v[160:167], 0// 000000006364: D3AD009C 0A034118
	v_mul_f32_dpp v46, v19, v15 row_newbcast:0 row_mask:0xf bank_mask:0xf// 00000000636C: 0A5C1EFA FF015013
	v_mov_b32_e32 v47, v46                                     // 000000006374: 7E5E032E
	v_pk_fma_f32 v[128:129], v[144:145], v[46:47], v[128:129]  // 000000006378: D3B04080 1E025D90
	v_pk_fma_f32 v[130:131], v[146:147], v[46:47], v[130:131]  // 000000006380: D3B04082 1E0A5D92
	v_pk_fma_f32 v[132:133], v[148:149], v[46:47], v[132:133]  // 000000006388: D3B04084 1E125D94
	v_pk_fma_f32 v[134:135], v[150:151], v[46:47], v[134:135]  // 000000006390: D3B04086 1E1A5D96
	v_mul_f32_dpp v46, v19, v15 row_newbcast:1 row_mask:0xf bank_mask:0xf// 000000006398: 0A5C1EFA FF015113
	v_mov_b32_e32 v47, v46                                     // 0000000063A0: 7E5E032E
	v_pk_fma_f32 v[136:137], v[152:153], v[46:47], v[136:137]  // 0000000063A4: D3B04088 1E225D98
	v_pk_fma_f32 v[138:139], v[154:155], v[46:47], v[138:139]  // 0000000063AC: D3B0408A 1E2A5D9A
	v_pk_fma_f32 v[140:141], v[156:157], v[46:47], v[140:141]  // 0000000063B4: D3B0408C 1E325D9C
	v_pk_fma_f32 v[142:143], v[158:159], v[46:47], v[142:143]  // 0000000063BC: D3B0408E 1E3A5D9E
	s_waitcnt vmcnt(20)                                        // 0000000063C4: BF8C4F74
	v_mfma_f32_16x16x128_f8f6f4 v[144:147], a[32:39], v[168:175], 0// 0000000063C8: D3AD0090 0A035120
	buffer_load_dwordx4 a[160:163], v33, s[24:27], 0 offen offset:2048// 0000000063D0: E05C1800 8086A021
	buffer_load_dwordx4 a[164:167], v33, s[24:27], 0 offen offset:3072// 0000000063D8: E05C1C00 8086A421
	buffer_load_dwordx4 a[168:171], v34, s[24:27], 0 offen offset:2048// 0000000063E0: E05C1800 8086A822
	buffer_load_dwordx4 a[172:175], v34, s[24:27], 0 offen offset:3072// 0000000063E8: E05C1C00 8086AC22
	v_mfma_f32_16x16x128_f8f6f4 v[148:151], a[40:47], v[168:175], 0// 0000000063F0: D3AD0094 0A035128
	s_waitcnt vmcnt(20)                                        // 0000000063F8: BF8C4F74
	v_mfma_f32_16x16x128_f8f6f4 v[152:155], a[48:55], v[168:175], 0// 0000000063FC: D3AD0098 0A035130
	buffer_load_dwordx4 a[176:179], v35, s[24:27], 0 offen offset:2048// 000000006404: E05C1800 8086B023
	buffer_load_dwordx4 a[180:183], v35, s[24:27], 0 offen offset:3072// 00000000640C: E05C1C00 8086B423
	buffer_load_dwordx4 a[184:187], v36, s[24:27], 0 offen offset:2048// 000000006414: E05C1800 8086B824
	buffer_load_dwordx4 a[188:191], v36, s[24:27], 0 offen offset:3072// 00000000641C: E05C1C00 8086BC24
	v_mfma_f32_16x16x128_f8f6f4 v[156:159], a[56:63], v[168:175], 0// 000000006424: D3AD009C 0A035138
	v_mul_f32_dpp v46, v19, v16 row_newbcast:2 row_mask:0xf bank_mask:0xf// 00000000642C: 0A5C20FA FF015213
	v_mov_b32_e32 v47, v46                                     // 000000006434: 7E5E032E
	v_pk_fma_f32 v[128:129], v[144:145], v[46:47], v[128:129]  // 000000006438: D3B04080 1E025D90
	v_pk_fma_f32 v[130:131], v[146:147], v[46:47], v[130:131]  // 000000006440: D3B04082 1E0A5D92
	v_pk_fma_f32 v[132:133], v[148:149], v[46:47], v[132:133]  // 000000006448: D3B04084 1E125D94
	v_pk_fma_f32 v[134:135], v[150:151], v[46:47], v[134:135]  // 000000006450: D3B04086 1E1A5D96
	v_mul_f32_dpp v46, v19, v16 row_newbcast:3 row_mask:0xf bank_mask:0xf// 000000006458: 0A5C20FA FF015313
	v_mov_b32_e32 v47, v46                                     // 000000006460: 7E5E032E
	v_pk_fma_f32 v[136:137], v[152:153], v[46:47], v[136:137]  // 000000006464: D3B04088 1E225D98
	v_pk_fma_f32 v[138:139], v[154:155], v[46:47], v[138:139]  // 00000000646C: D3B0408A 1E2A5D9A
	v_pk_fma_f32 v[140:141], v[156:157], v[46:47], v[140:141]  // 000000006474: D3B0408C 1E325D9C
	v_pk_fma_f32 v[142:143], v[158:159], v[46:47], v[142:143]  // 00000000647C: D3B0408E 1E3A5D9E
	s_add_u32 s60, 0x200, s80                                  // 000000006484: 803C50FF 00000200
	s_cmp_lt_u32 s60, s81                                      // 00000000648C: BF0A513C
	s_cselect_b32 s4, s4, 0                                    // 000000006490: 85048004
	s_add_u32 s32, s4, s32                                     // 000000006494: 80202004
	s_addc_u32 s33, 0, s33                                     // 000000006498: 82212180
	s_waitcnt vmcnt(0)                                         // 00000000649C: BF8C0F70
	s_barrier                                                  // 0000000064A0: BF8A0000
	v_mfma_f32_16x16x128_f8f6f4 v[144:147], a[64:71], v[160:167], 0// 0000000064A4: D3AD0090 0A034140
	buffer_load_dwordx4 a[192:195], v33, s[92:95], 0 offen     // 0000000064AC: E05C1000 8097C021
	buffer_load_dwordx4 a[196:199], v33, s[92:95], 0 offen offset:1024// 0000000064B4: E05C1400 8097C421
	buffer_load_dwordx4 a[200:203], v34, s[92:95], 0 offen     // 0000000064BC: E05C1000 8097C822
	buffer_load_dwordx4 a[204:207], v34, s[92:95], 0 offen offset:1024// 0000000064C4: E05C1400 8097CC22
	v_mfma_f32_16x16x128_f8f6f4 v[148:151], a[72:79], v[160:167], 0// 0000000064CC: D3AD0094 0A034148
	s_waitcnt vmcnt(4)                                         // 0000000064D4: BF8C0F74
	v_mfma_f32_16x16x128_f8f6f4 v[152:155], a[80:87], v[160:167], 0// 0000000064D8: D3AD0098 0A034150
	buffer_load_dwordx4 a[208:211], v35, s[92:95], 0 offen     // 0000000064E0: E05C1000 8097D023
	buffer_load_dwordx4 a[212:215], v35, s[92:95], 0 offen offset:1024// 0000000064E8: E05C1400 8097D423
	buffer_load_dwordx4 a[216:219], v36, s[92:95], 0 offen     // 0000000064F0: E05C1000 8097D824
	buffer_load_dwordx4 a[220:223], v36, s[92:95], 0 offen offset:1024// 0000000064F8: E05C1400 8097DC24
	v_mfma_f32_16x16x128_f8f6f4 v[156:159], a[88:95], v[160:167], 0// 000000006500: D3AD009C 0A034158
	s_waitcnt vmcnt(8)                                         // 000000006508: BF8C0F78
	v_mov_b32_e32 v26, 0                                       // 00000000650C: 7E340280
	v_lshlrev_b32_e32 v46, 16, v176                            // 000000006510: 245D6090
	v_and_b32_e32 v47, 0xffff0000, v176                        // 000000006514: 265F60FF FFFF0000
	v_max3_f32 v26, |v47|, |v46|, v26                          // 00000000651C: D1D3031A 046A5D2F
	v_lshlrev_b32_e32 v46, 16, v177                            // 000000006524: 245D6290
	v_and_b32_e32 v47, 0xffff0000, v177                        // 000000006528: 265F62FF FFFF0000
	v_max3_f32 v26, |v47|, |v46|, v26                          // 000000006530: D1D3031A 046A5D2F
	v_lshlrev_b32_e32 v46, 16, v178                            // 000000006538: 245D6490
	v_and_b32_e32 v47, 0xffff0000, v178                        // 00000000653C: 265F64FF FFFF0000
	v_max3_f32 v26, |v47|, |v46|, v26                          // 000000006544: D1D3031A 046A5D2F
	v_lshlrev_b32_e32 v46, 16, v179                            // 00000000654C: 245D6690
	v_and_b32_e32 v47, 0xffff0000, v179                        // 000000006550: 265F66FF FFFF0000
	v_max3_f32 v26, |v47|, |v46|, v26                          // 000000006558: D1D3031A 046A5D2F
	v_lshlrev_b32_e32 v46, 16, v180                            // 000000006560: 245D6890
	v_and_b32_e32 v47, 0xffff0000, v180                        // 000000006564: 265F68FF FFFF0000
	v_max3_f32 v26, |v47|, |v46|, v26                          // 00000000656C: D1D3031A 046A5D2F
	v_lshlrev_b32_e32 v46, 16, v181                            // 000000006574: 245D6A90
	v_and_b32_e32 v47, 0xffff0000, v181                        // 000000006578: 265F6AFF FFFF0000
	v_max3_f32 v26, |v47|, |v46|, v26                          // 000000006580: D1D3031A 046A5D2F
	v_lshlrev_b32_e32 v46, 16, v182                            // 000000006588: 245D6C90
	v_and_b32_e32 v47, 0xffff0000, v182                        // 00000000658C: 265F6CFF FFFF0000
	v_max3_f32 v26, |v47|, |v46|, v26                          // 000000006594: D1D3031A 046A5D2F
	v_lshlrev_b32_e32 v46, 16, v183                            // 00000000659C: 245D6E90
	v_and_b32_e32 v47, 0xffff0000, v183                        // 0000000065A0: 265F6EFF FFFF0000
	v_max3_f32 v26, |v47|, |v46|, v26                          // 0000000065A8: D1D3031A 046A5D2F
	s_barrier                                                  // 0000000065B0: BF8A0000
	v_max_f32_dpp v27, v26, v26 quad_perm:[1,2,3,0] row_mask:0xf bank_mask:0xf// 0000000065B4: 163634FA FF00391A
	s_nop 1                                                    // 0000000065BC: BF800001
	v_max_f32_dpp v46, v27, v27 quad_perm:[2,3,0,1] row_mask:0xf bank_mask:0xf// 0000000065C0: 165C36FA FF004E1B
	s_nop 1                                                    // 0000000065C8: BF800001
	v_max_f32_dpp v26, v46, v46 row_half_mirror row_mask:0xf bank_mask:0xf// 0000000065CC: 16345CFA FF01412E
	v_rcp_f32_e32 v46, v26                                     // 0000000065D4: 7E5C451A
	v_mov_b32_e32 v47, 0x43e00000                              // 0000000065D8: 7E5E02FF 43E00000
	v_mul_f32_e32 v27, v47, v46                                // 0000000065E0: 0A365D2F
	v_mov_b32_e32 v26, v27                                     // 0000000065E4: 7E34031B
	v_lshlrev_b32_e32 v46, 16, v176                            // 0000000065E8: 245D6090
	v_and_b32_e32 v47, 0xffff0000, v176                        // 0000000065EC: 265F60FF FFFF0000
	v_pk_mul_f32 v[46:47], v[46:47], v[26:27]                  // 0000000065F4: D3B1402E 1802352E
	v_cvt_pk_fp8_f32 v176, v46, v47                            // 0000000065FC: D2A200B0 00025F2E
	v_lshlrev_b32_e32 v46, 16, v177                            // 000000006604: 245D6290
	v_and_b32_e32 v47, 0xffff0000, v177                        // 000000006608: 265F62FF FFFF0000
	v_pk_mul_f32 v[46:47], v[46:47], v[26:27]                  // 000000006610: D3B1402E 1802352E
	v_cvt_pk_fp8_f32 v176, v46, v47 op_sel:[0,0,1]             // 000000006618: D2A240B0 00025F2E
	v_lshlrev_b32_e32 v46, 16, v178                            // 000000006620: 245D6490
	v_and_b32_e32 v47, 0xffff0000, v178                        // 000000006624: 265F64FF FFFF0000
	v_pk_mul_f32 v[46:47], v[46:47], v[26:27]                  // 00000000662C: D3B1402E 1802352E
	v_cvt_pk_fp8_f32 v177, v46, v47                            // 000000006634: D2A200B1 00025F2E
	v_lshlrev_b32_e32 v46, 16, v179                            // 00000000663C: 245D6690
	v_and_b32_e32 v47, 0xffff0000, v179                        // 000000006640: 265F66FF FFFF0000
	v_pk_mul_f32 v[46:47], v[46:47], v[26:27]                  // 000000006648: D3B1402E 1802352E
	v_cvt_pk_fp8_f32 v177, v46, v47 op_sel:[0,0,1]             // 000000006650: D2A240B1 00025F2E
	v_lshlrev_b32_e32 v46, 16, v180                            // 000000006658: 245D6890
	v_and_b32_e32 v47, 0xffff0000, v180                        // 00000000665C: 265F68FF FFFF0000
	v_pk_mul_f32 v[46:47], v[46:47], v[26:27]                  // 000000006664: D3B1402E 1802352E
	v_cvt_pk_fp8_f32 v178, v46, v47                            // 00000000666C: D2A200B2 00025F2E
	v_lshlrev_b32_e32 v46, 16, v181                            // 000000006674: 245D6A90
	v_and_b32_e32 v47, 0xffff0000, v181                        // 000000006678: 265F6AFF FFFF0000
	v_pk_mul_f32 v[46:47], v[46:47], v[26:27]                  // 000000006680: D3B1402E 1802352E
	v_cvt_pk_fp8_f32 v178, v46, v47 op_sel:[0,0,1]             // 000000006688: D2A240B2 00025F2E
	v_lshlrev_b32_e32 v46, 16, v182                            // 000000006690: 245D6C90
	v_and_b32_e32 v47, 0xffff0000, v182                        // 000000006694: 265F6CFF FFFF0000
	v_pk_mul_f32 v[46:47], v[46:47], v[26:27]                  // 00000000669C: D3B1402E 1802352E
	v_cvt_pk_fp8_f32 v179, v46, v47                            // 0000000066A4: D2A200B3 00025F2E
	v_lshlrev_b32_e32 v46, 16, v183                            // 0000000066AC: 245D6E90
	v_and_b32_e32 v47, 0xffff0000, v183                        // 0000000066B0: 265F6EFF FFFF0000
	v_pk_mul_f32 v[46:47], v[46:47], v[26:27]                  // 0000000066B8: D3B1402E 1802352E
	v_cvt_pk_fp8_f32 v179, v46, v47 op_sel:[0,0,1]             // 0000000066C0: D2A240B3 00025F2E
	v_lshlrev_b32_e32 v46, 4, v0                               // 0000000066C8: 245C0084
	v_add_u32_e64 v46, v46, s51                                // 0000000066CC: D134002E 0000672E
	ds_write_b128 v46, v[176:179]                              // 0000000066D4: D9BE0000 0000B02E
	v_rcp_f32_e32 v28, v27                                     // 0000000066DC: 7E38451B
	v_add_u32_e32 v46, 0, v30                                  // 0000000066E0: 685C3C80
	s_mov_b64 s[60:61], exec                                   // 0000000066E4: BEBC017E
	s_mov_b32 s62, 0xf0f0f0f                                   // 0000000066E8: BEBE00FF 0F0F0F0F
	s_mov_b32 s63, 0xf0f0f0f                                   // 0000000066F0: BEBF00FF 0F0F0F0F
	s_mov_b64 exec, s[62:63]                                   // 0000000066F8: BEFE013E
	ds_write_b32 v46, v28 offset:9728                          // 0000000066FC: D81A2600 00001C2E
	s_mov_b64 exec, s[60:61]                                   // 000000006704: BEFE013C
	v_mul_f32_dpp v46, v21, v15 row_newbcast:0 row_mask:0xf bank_mask:0xf// 000000006708: 0A5C1EFA FF015015
	v_mov_b32_e32 v47, v46                                     // 000000006710: 7E5E032E
	v_pk_fma_f32 v[64:65], v[144:145], v[46:47], v[64:65]      // 000000006714: D3B04040 1D025D90
	v_pk_fma_f32 v[66:67], v[146:147], v[46:47], v[66:67]      // 00000000671C: D3B04042 1D0A5D92
	v_pk_fma_f32 v[68:69], v[148:149], v[46:47], v[68:69]      // 000000006724: D3B04044 1D125D94
	v_pk_fma_f32 v[70:71], v[150:151], v[46:47], v[70:71]      // 00000000672C: D3B04046 1D1A5D96
	v_mul_f32_dpp v46, v21, v15 row_newbcast:1 row_mask:0xf bank_mask:0xf// 000000006734: 0A5C1EFA FF015115
	v_mov_b32_e32 v47, v46                                     // 00000000673C: 7E5E032E
	v_pk_fma_f32 v[72:73], v[152:153], v[46:47], v[72:73]      // 000000006740: D3B04048 1D225D98
	v_pk_fma_f32 v[74:75], v[154:155], v[46:47], v[74:75]      // 000000006748: D3B0404A 1D2A5D9A
	v_pk_fma_f32 v[76:77], v[156:157], v[46:47], v[76:77]      // 000000006750: D3B0404C 1D325D9C
	v_pk_fma_f32 v[78:79], v[158:159], v[46:47], v[78:79]      // 000000006758: D3B0404E 1D3A5D9E
	s_waitcnt vmcnt(4)                                         // 000000006760: BF8C0F74
	v_mfma_f32_16x16x128_f8f6f4 v[144:147], a[96:103], v[168:175], 0// 000000006764: D3AD0090 0A035160
	buffer_load_dwordx4 a[224:227], v33, s[92:95], 0 offen offset:2048// 00000000676C: E05C1800 8097E021
	buffer_load_dwordx4 a[228:231], v33, s[92:95], 0 offen offset:3072// 000000006774: E05C1C00 8097E421
	buffer_load_dwordx4 a[232:235], v34, s[92:95], 0 offen offset:2048// 00000000677C: E05C1800 8097E822
	buffer_load_dwordx4 a[236:239], v34, s[92:95], 0 offen offset:3072// 000000006784: E05C1C00 8097EC22
	v_mfma_f32_16x16x128_f8f6f4 v[148:151], a[104:111], v[168:175], 0// 00000000678C: D3AD0094 0A035168
	s_waitcnt lgkmcnt(0)                                       // 000000006794: BF8CC07F
	s_barrier                                                  // 000000006798: BF8A0000
	ds_read_b128 v[176:179], v2 offset:5376                    // 00000000679C: D9FE1500 B0000002
	ds_read_b128 v[180:183], v2 offset:5440                    // 0000000067A4: D9FE1540 B4000002
	ds_read_b32 v17, v3 offset:9728                            // 0000000067AC: D86C2600 11000003
	s_waitcnt vmcnt(4)                                         // 0000000067B4: BF8C0F74
	v_mfma_f32_16x16x128_f8f6f4 v[152:155], a[112:119], v[168:175], 0// 0000000067B8: D3AD0098 0A035170
	buffer_load_dwordx4 a[240:243], v35, s[92:95], 0 offen offset:2048// 0000000067C0: E05C1800 8097F023
	buffer_load_dwordx4 a[244:247], v35, s[92:95], 0 offen offset:3072// 0000000067C8: E05C1C00 8097F423
	buffer_load_dwordx4 a[248:251], v36, s[92:95], 0 offen offset:2048// 0000000067D0: E05C1800 8097F824
	buffer_load_dwordx4 a[252:255], v36, s[92:95], 0 offen offset:3072// 0000000067D8: E05C1C00 8097FC24
	v_mfma_f32_16x16x128_f8f6f4 v[156:159], a[120:127], v[168:175], 0// 0000000067E0: D3AD009C 0A035178
	ds_read_b128 v[184:187], v2 offset:5888                    // 0000000067E8: D9FE1700 B8000002
	ds_read_b128 v[188:191], v2 offset:5952                    // 0000000067F0: D9FE1740 BC000002
	ds_read_b32 v18, v3 offset:9984                            // 0000000067F8: D86C2700 12000003
	v_mul_f32_dpp v46, v21, v16 row_newbcast:2 row_mask:0xf bank_mask:0xf// 000000006800: 0A5C20FA FF015215
	v_mov_b32_e32 v47, v46                                     // 000000006808: 7E5E032E
	v_pk_fma_f32 v[64:65], v[144:145], v[46:47], v[64:65]      // 00000000680C: D3B04040 1D025D90
	v_pk_fma_f32 v[66:67], v[146:147], v[46:47], v[66:67]      // 000000006814: D3B04042 1D0A5D92
	v_pk_fma_f32 v[68:69], v[148:149], v[46:47], v[68:69]      // 00000000681C: D3B04044 1D125D94
	v_pk_fma_f32 v[70:71], v[150:151], v[46:47], v[70:71]      // 000000006824: D3B04046 1D1A5D96
	v_mul_f32_dpp v46, v21, v16 row_newbcast:3 row_mask:0xf bank_mask:0xf// 00000000682C: 0A5C20FA FF015315
	v_mov_b32_e32 v47, v46                                     // 000000006834: 7E5E032E
	v_pk_fma_f32 v[72:73], v[152:153], v[46:47], v[72:73]      // 000000006838: D3B04048 1D225D98
	v_pk_fma_f32 v[74:75], v[154:155], v[46:47], v[74:75]      // 000000006840: D3B0404A 1D2A5D9A
	v_pk_fma_f32 v[76:77], v[156:157], v[46:47], v[76:77]      // 000000006848: D3B0404C 1D325D9C
	v_pk_fma_f32 v[78:79], v[158:159], v[46:47], v[78:79]      // 000000006850: D3B0404E 1D3A5D9E
	s_add_u32 s60, 0x200, s80                                  // 000000006858: 803C50FF 00000200
	s_cmp_lt_u32 s60, s81                                      // 000000006860: BF0A513C
	s_cselect_b32 s57, s57, 0                                  // 000000006864: 85398039
	s_add_u32 s60, 0x200, s80                                  // 000000006868: 803C50FF 00000200
	s_cmp_lt_u32 s60, s81                                      // 000000006870: BF0A513C
	s_cselect_b32 s58, s58, 0                                  // 000000006874: 853A803A
	s_cselect_b32 s90, s90, 0                                  // 000000006878: 855A805A
	s_add_u32 s20, s57, s20                                    // 00000000687C: 80141439
	s_addc_u32 s21, 0, s21                                     // 000000006880: 82151580
	s_add_u32 s24, s58, s24                                    // 000000006884: 8018183A
	s_addc_u32 s25, 0, s25                                     // 000000006888: 82191980
	s_add_u32 s92, s90, s92                                    // 00000000688C: 805C5C5A
	s_addc_u32 s93, 0, s93                                     // 000000006890: 825D5D80
	s_addk_i32 s80, 0x100                                      // 000000006894: B7500100
	s_cmp_lt_i32 s80, s81                                      // 000000006898: BF045150
	s_cbranch_scc0 label_1019                                  // 00000000689C: BF840171
	s_waitcnt vmcnt(28) lgkmcnt(0)                             // 0000000068A0: BF8C407C
	s_barrier                                                  // 0000000068A4: BF8A0000
	v_mfma_f32_16x16x128_f8f6f4 v[144:147], a[128:135], v[176:183], 0// 0000000068A8: D3AD0090 0A036180
	buffer_load_dwordx4 v[160:163], v31, s[20:23], 0 offen     // 0000000068B0: E05C1000 8005A01F
	buffer_load_dwordx4 v[164:167], v31, s[20:23], 0 offen offset:16// 0000000068B8: E05C1010 8005A41F
	buffer_load_dword v19, v11, s[32:35], 0 offen              // 0000000068C0: E0501000 8008130B
	buffer_load_dword v21, v13, s[32:35], 0 offen              // 0000000068C8: E0501000 8008150D
	buffer_load_dwordx4 a[0:3], v33, s[24:27], 0 offen         // 0000000068D0: E05C1000 80860021
	buffer_load_dwordx4 a[4:7], v33, s[24:27], 0 offen offset:1024// 0000000068D8: E05C1400 80860421
	buffer_load_dwordx4 a[8:11], v34, s[24:27], 0 offen        // 0000000068E0: E05C1000 80860822
	buffer_load_dwordx4 a[12:15], v34, s[24:27], 0 offen offset:1024// 0000000068E8: E05C1400 80860C22
	v_mfma_f32_16x16x128_f8f6f4 v[148:151], a[136:143], v[176:183], 0// 0000000068F0: D3AD0094 0A036188
	s_waitcnt vmcnt(20)                                        // 0000000068F8: BF8C4F74
	v_mfma_f32_16x16x128_f8f6f4 v[152:155], a[144:151], v[176:183], 0// 0000000068FC: D3AD0098 0A036190
	buffer_load_dwordx4 a[16:19], v35, s[24:27], 0 offen       // 000000006904: E05C1000 80861023
	buffer_load_dwordx4 a[20:23], v35, s[24:27], 0 offen offset:1024// 00000000690C: E05C1400 80861423
	buffer_load_dwordx4 a[24:27], v36, s[24:27], 0 offen       // 000000006914: E05C1000 80861824
	buffer_load_dwordx4 a[28:31], v36, s[24:27], 0 offen offset:1024// 00000000691C: E05C1400 80861C24
	v_mfma_f32_16x16x128_f8f6f4 v[156:159], a[152:159], v[176:183], 0// 000000006924: D3AD009C 0A036198
	v_mul_f32_dpp v46, v20, v17 row_newbcast:0 row_mask:0xf bank_mask:0xf// 00000000692C: 0A5C22FA FF015014
	v_mov_b32_e32 v47, v46                                     // 000000006934: 7E5E032E
	v_pk_fma_f32 v[128:129], v[144:145], v[46:47], v[128:129]  // 000000006938: D3B04080 1E025D90
	v_pk_fma_f32 v[130:131], v[146:147], v[46:47], v[130:131]  // 000000006940: D3B04082 1E0A5D92
	v_pk_fma_f32 v[132:133], v[148:149], v[46:47], v[132:133]  // 000000006948: D3B04084 1E125D94
	v_pk_fma_f32 v[134:135], v[150:151], v[46:47], v[134:135]  // 000000006950: D3B04086 1E1A5D96
	v_mul_f32_dpp v46, v20, v17 row_newbcast:1 row_mask:0xf bank_mask:0xf// 000000006958: 0A5C22FA FF015114
	v_mov_b32_e32 v47, v46                                     // 000000006960: 7E5E032E
	v_pk_fma_f32 v[136:137], v[152:153], v[46:47], v[136:137]  // 000000006964: D3B04088 1E225D98
	v_pk_fma_f32 v[138:139], v[154:155], v[46:47], v[138:139]  // 00000000696C: D3B0408A 1E2A5D9A
	v_pk_fma_f32 v[140:141], v[156:157], v[46:47], v[140:141]  // 000000006974: D3B0408C 1E325D9C
	v_pk_fma_f32 v[142:143], v[158:159], v[46:47], v[142:143]  // 00000000697C: D3B0408E 1E3A5D9E
	s_waitcnt vmcnt(20)                                        // 000000006984: BF8C4F74
	v_mfma_f32_16x16x128_f8f6f4 v[144:147], a[160:167], v[184:191], 0// 000000006988: D3AD0090 0A0371A0
	buffer_load_dwordx4 a[32:35], v33, s[24:27], 0 offen offset:2048// 000000006990: E05C1800 80862021
	buffer_load_dwordx4 a[36:39], v33, s[24:27], 0 offen offset:3072// 000000006998: E05C1C00 80862421
	buffer_load_dwordx4 a[40:43], v34, s[24:27], 0 offen offset:2048// 0000000069A0: E05C1800 80862822
	buffer_load_dwordx4 a[44:47], v34, s[24:27], 0 offen offset:3072// 0000000069A8: E05C1C00 80862C22
	v_mfma_f32_16x16x128_f8f6f4 v[148:151], a[168:175], v[184:191], 0// 0000000069B0: D3AD0094 0A0371A8
	s_waitcnt vmcnt(20)                                        // 0000000069B8: BF8C4F74
	v_mfma_f32_16x16x128_f8f6f4 v[152:155], a[176:183], v[184:191], 0// 0000000069BC: D3AD0098 0A0371B0
	buffer_load_dwordx4 a[48:51], v35, s[24:27], 0 offen offset:2048// 0000000069C4: E05C1800 80863023
	buffer_load_dwordx4 a[52:55], v35, s[24:27], 0 offen offset:3072// 0000000069CC: E05C1C00 80863423
	buffer_load_dwordx4 a[56:59], v36, s[24:27], 0 offen offset:2048// 0000000069D4: E05C1800 80863824
	buffer_load_dwordx4 a[60:63], v36, s[24:27], 0 offen offset:3072// 0000000069DC: E05C1C00 80863C24
	v_mfma_f32_16x16x128_f8f6f4 v[156:159], a[184:191], v[184:191], 0// 0000000069E4: D3AD009C 0A0371B8
	v_mul_f32_dpp v46, v20, v18 row_newbcast:2 row_mask:0xf bank_mask:0xf// 0000000069EC: 0A5C24FA FF015214
	v_mov_b32_e32 v47, v46                                     // 0000000069F4: 7E5E032E
	v_pk_fma_f32 v[128:129], v[144:145], v[46:47], v[128:129]  // 0000000069F8: D3B04080 1E025D90
	v_pk_fma_f32 v[130:131], v[146:147], v[46:47], v[130:131]  // 000000006A00: D3B04082 1E0A5D92
	v_pk_fma_f32 v[132:133], v[148:149], v[46:47], v[132:133]  // 000000006A08: D3B04084 1E125D94
	v_pk_fma_f32 v[134:135], v[150:151], v[46:47], v[134:135]  // 000000006A10: D3B04086 1E1A5D96
	v_mul_f32_dpp v46, v20, v18 row_newbcast:3 row_mask:0xf bank_mask:0xf// 000000006A18: 0A5C24FA FF015314
	v_mov_b32_e32 v47, v46                                     // 000000006A20: 7E5E032E
	v_pk_fma_f32 v[136:137], v[152:153], v[46:47], v[136:137]  // 000000006A24: D3B04088 1E225D98
	v_pk_fma_f32 v[138:139], v[154:155], v[46:47], v[138:139]  // 000000006A2C: D3B0408A 1E2A5D9A
	v_pk_fma_f32 v[140:141], v[156:157], v[46:47], v[140:141]  // 000000006A34: D3B0408C 1E325D9C
	v_pk_fma_f32 v[142:143], v[158:159], v[46:47], v[142:143]  // 000000006A3C: D3B0408E 1E3A5D9E
	s_add_u32 s60, 0x200, s80                                  // 000000006A44: 803C50FF 00000200
	s_cmp_lt_u32 s60, s81                                      // 000000006A4C: BF0A513C
	s_cselect_b32 s4, s4, 0                                    // 000000006A50: 85048004
	s_add_u32 s32, s4, s32                                     // 000000006A54: 80202004
	s_addc_u32 s33, 0, s33                                     // 000000006A58: 82212180
	s_waitcnt vmcnt(0)                                         // 000000006A5C: BF8C0F70
	s_barrier                                                  // 000000006A60: BF8A0000
	v_mfma_f32_16x16x128_f8f6f4 v[144:147], a[192:199], v[176:183], 0// 000000006A64: D3AD0090 0A0361C0
	buffer_load_dwordx4 a[64:67], v33, s[92:95], 0 offen       // 000000006A6C: E05C1000 80974021
	buffer_load_dwordx4 a[68:71], v33, s[92:95], 0 offen offset:1024// 000000006A74: E05C1400 80974421
	buffer_load_dwordx4 a[72:75], v34, s[92:95], 0 offen       // 000000006A7C: E05C1000 80974822
	buffer_load_dwordx4 a[76:79], v34, s[92:95], 0 offen offset:1024// 000000006A84: E05C1400 80974C22
	v_mfma_f32_16x16x128_f8f6f4 v[148:151], a[200:207], v[176:183], 0// 000000006A8C: D3AD0094 0A0361C8
	s_waitcnt vmcnt(4)                                         // 000000006A94: BF8C0F74
	v_mfma_f32_16x16x128_f8f6f4 v[152:155], a[208:215], v[176:183], 0// 000000006A98: D3AD0098 0A0361D0
	buffer_load_dwordx4 a[80:83], v35, s[92:95], 0 offen       // 000000006AA0: E05C1000 80975023
	buffer_load_dwordx4 a[84:87], v35, s[92:95], 0 offen offset:1024// 000000006AA8: E05C1400 80975423
	buffer_load_dwordx4 a[88:91], v36, s[92:95], 0 offen       // 000000006AB0: E05C1000 80975824
	buffer_load_dwordx4 a[92:95], v36, s[92:95], 0 offen offset:1024// 000000006AB8: E05C1400 80975C24
	v_mfma_f32_16x16x128_f8f6f4 v[156:159], a[216:223], v[176:183], 0// 000000006AC0: D3AD009C 0A0361D8
	s_waitcnt vmcnt(8)                                         // 000000006AC8: BF8C0F78
	v_mov_b32_e32 v26, 0                                       // 000000006ACC: 7E340280
	v_lshlrev_b32_e32 v46, 16, v160                            // 000000006AD0: 245D4090
	v_and_b32_e32 v47, 0xffff0000, v160                        // 000000006AD4: 265F40FF FFFF0000
	v_max3_f32 v26, |v47|, |v46|, v26                          // 000000006ADC: D1D3031A 046A5D2F
	v_lshlrev_b32_e32 v46, 16, v161                            // 000000006AE4: 245D4290
	v_and_b32_e32 v47, 0xffff0000, v161                        // 000000006AE8: 265F42FF FFFF0000
	v_max3_f32 v26, |v47|, |v46|, v26                          // 000000006AF0: D1D3031A 046A5D2F
	v_lshlrev_b32_e32 v46, 16, v162                            // 000000006AF8: 245D4490
	v_and_b32_e32 v47, 0xffff0000, v162                        // 000000006AFC: 265F44FF FFFF0000
	v_max3_f32 v26, |v47|, |v46|, v26                          // 000000006B04: D1D3031A 046A5D2F
	v_lshlrev_b32_e32 v46, 16, v163                            // 000000006B0C: 245D4690
	v_and_b32_e32 v47, 0xffff0000, v163                        // 000000006B10: 265F46FF FFFF0000
	v_max3_f32 v26, |v47|, |v46|, v26                          // 000000006B18: D1D3031A 046A5D2F
	v_lshlrev_b32_e32 v46, 16, v164                            // 000000006B20: 245D4890
	v_and_b32_e32 v47, 0xffff0000, v164                        // 000000006B24: 265F48FF FFFF0000
	v_max3_f32 v26, |v47|, |v46|, v26                          // 000000006B2C: D1D3031A 046A5D2F
	v_lshlrev_b32_e32 v46, 16, v165                            // 000000006B34: 245D4A90
	v_and_b32_e32 v47, 0xffff0000, v165                        // 000000006B38: 265F4AFF FFFF0000
	v_max3_f32 v26, |v47|, |v46|, v26                          // 000000006B40: D1D3031A 046A5D2F
	v_lshlrev_b32_e32 v46, 16, v166                            // 000000006B48: 245D4C90
	v_and_b32_e32 v47, 0xffff0000, v166                        // 000000006B4C: 265F4CFF FFFF0000
	v_max3_f32 v26, |v47|, |v46|, v26                          // 000000006B54: D1D3031A 046A5D2F
	v_lshlrev_b32_e32 v46, 16, v167                            // 000000006B5C: 245D4E90
	v_and_b32_e32 v47, 0xffff0000, v167                        // 000000006B60: 265F4EFF FFFF0000
	v_max3_f32 v26, |v47|, |v46|, v26                          // 000000006B68: D1D3031A 046A5D2F
	s_barrier                                                  // 000000006B70: BF8A0000
	v_max_f32_dpp v27, v26, v26 quad_perm:[1,2,3,0] row_mask:0xf bank_mask:0xf// 000000006B74: 163634FA FF00391A
	s_nop 1                                                    // 000000006B7C: BF800001
	v_max_f32_dpp v46, v27, v27 quad_perm:[2,3,0,1] row_mask:0xf bank_mask:0xf// 000000006B80: 165C36FA FF004E1B
	s_nop 1                                                    // 000000006B88: BF800001
	v_max_f32_dpp v26, v46, v46 row_half_mirror row_mask:0xf bank_mask:0xf// 000000006B8C: 16345CFA FF01412E
	v_rcp_f32_e32 v46, v26                                     // 000000006B94: 7E5C451A
	v_mov_b32_e32 v47, 0x43e00000                              // 000000006B98: 7E5E02FF 43E00000
	v_mul_f32_e32 v27, v47, v46                                // 000000006BA0: 0A365D2F
	v_mov_b32_e32 v26, v27                                     // 000000006BA4: 7E34031B
	v_lshlrev_b32_e32 v46, 16, v160                            // 000000006BA8: 245D4090
	v_and_b32_e32 v47, 0xffff0000, v160                        // 000000006BAC: 265F40FF FFFF0000
	v_pk_mul_f32 v[46:47], v[46:47], v[26:27]                  // 000000006BB4: D3B1402E 1802352E
	v_cvt_pk_fp8_f32 v160, v46, v47                            // 000000006BBC: D2A200A0 00025F2E
	v_lshlrev_b32_e32 v46, 16, v161                            // 000000006BC4: 245D4290
	v_and_b32_e32 v47, 0xffff0000, v161                        // 000000006BC8: 265F42FF FFFF0000
	v_pk_mul_f32 v[46:47], v[46:47], v[26:27]                  // 000000006BD0: D3B1402E 1802352E
	v_cvt_pk_fp8_f32 v160, v46, v47 op_sel:[0,0,1]             // 000000006BD8: D2A240A0 00025F2E
	v_lshlrev_b32_e32 v46, 16, v162                            // 000000006BE0: 245D4490
	v_and_b32_e32 v47, 0xffff0000, v162                        // 000000006BE4: 265F44FF FFFF0000
	v_pk_mul_f32 v[46:47], v[46:47], v[26:27]                  // 000000006BEC: D3B1402E 1802352E
	v_cvt_pk_fp8_f32 v161, v46, v47                            // 000000006BF4: D2A200A1 00025F2E
	v_lshlrev_b32_e32 v46, 16, v163                            // 000000006BFC: 245D4690
	v_and_b32_e32 v47, 0xffff0000, v163                        // 000000006C00: 265F46FF FFFF0000
	v_pk_mul_f32 v[46:47], v[46:47], v[26:27]                  // 000000006C08: D3B1402E 1802352E
	v_cvt_pk_fp8_f32 v161, v46, v47 op_sel:[0,0,1]             // 000000006C10: D2A240A1 00025F2E
	v_lshlrev_b32_e32 v46, 16, v164                            // 000000006C18: 245D4890
	v_and_b32_e32 v47, 0xffff0000, v164                        // 000000006C1C: 265F48FF FFFF0000
	v_pk_mul_f32 v[46:47], v[46:47], v[26:27]                  // 000000006C24: D3B1402E 1802352E
	v_cvt_pk_fp8_f32 v162, v46, v47                            // 000000006C2C: D2A200A2 00025F2E
	v_lshlrev_b32_e32 v46, 16, v165                            // 000000006C34: 245D4A90
	v_and_b32_e32 v47, 0xffff0000, v165                        // 000000006C38: 265F4AFF FFFF0000
	v_pk_mul_f32 v[46:47], v[46:47], v[26:27]                  // 000000006C40: D3B1402E 1802352E
	v_cvt_pk_fp8_f32 v162, v46, v47 op_sel:[0,0,1]             // 000000006C48: D2A240A2 00025F2E
	v_lshlrev_b32_e32 v46, 16, v166                            // 000000006C50: 245D4C90
	v_and_b32_e32 v47, 0xffff0000, v166                        // 000000006C54: 265F4CFF FFFF0000
	v_pk_mul_f32 v[46:47], v[46:47], v[26:27]                  // 000000006C5C: D3B1402E 1802352E
	v_cvt_pk_fp8_f32 v163, v46, v47                            // 000000006C64: D2A200A3 00025F2E
	v_lshlrev_b32_e32 v46, 16, v167                            // 000000006C6C: 245D4E90
	v_and_b32_e32 v47, 0xffff0000, v167                        // 000000006C70: 265F4EFF FFFF0000
	v_pk_mul_f32 v[46:47], v[46:47], v[26:27]                  // 000000006C78: D3B1402E 1802352E
	v_cvt_pk_fp8_f32 v163, v46, v47 op_sel:[0,0,1]             // 000000006C80: D2A240A3 00025F2E
	v_lshlrev_b32_e32 v46, 4, v0                               // 000000006C88: 245C0084
	v_add_u32_e64 v46, v46, s50                                // 000000006C8C: D134002E 0000652E
	ds_write_b128 v46, v[160:163]                              // 000000006C94: D9BE0000 0000A02E
	v_rcp_f32_e32 v28, v27                                     // 000000006C9C: 7E38451B
	v_add_u32_e32 v46, 0, v30                                  // 000000006CA0: 685C3C80
	s_mov_b64 s[60:61], exec                                   // 000000006CA4: BEBC017E
	s_mov_b32 s62, 0xf0f0f0f                                   // 000000006CA8: BEBE00FF 0F0F0F0F
	s_mov_b32 s63, 0xf0f0f0f                                   // 000000006CB0: BEBF00FF 0F0F0F0F
	s_mov_b64 exec, s[62:63]                                   // 000000006CB8: BEFE013E
	ds_write_b32 v46, v28 offset:4352                          // 000000006CBC: D81A1100 00001C2E
	s_mov_b64 exec, s[60:61]                                   // 000000006CC4: BEFE013C
	v_mul_f32_dpp v46, v22, v17 row_newbcast:0 row_mask:0xf bank_mask:0xf// 000000006CC8: 0A5C22FA FF015016
	v_mov_b32_e32 v47, v46                                     // 000000006CD0: 7E5E032E
	v_pk_fma_f32 v[64:65], v[144:145], v[46:47], v[64:65]      // 000000006CD4: D3B04040 1D025D90
	v_pk_fma_f32 v[66:67], v[146:147], v[46:47], v[66:67]      // 000000006CDC: D3B04042 1D0A5D92
	v_pk_fma_f32 v[68:69], v[148:149], v[46:47], v[68:69]      // 000000006CE4: D3B04044 1D125D94
	v_pk_fma_f32 v[70:71], v[150:151], v[46:47], v[70:71]      // 000000006CEC: D3B04046 1D1A5D96
	v_mul_f32_dpp v46, v22, v17 row_newbcast:1 row_mask:0xf bank_mask:0xf// 000000006CF4: 0A5C22FA FF015116
	v_mov_b32_e32 v47, v46                                     // 000000006CFC: 7E5E032E
	v_pk_fma_f32 v[72:73], v[152:153], v[46:47], v[72:73]      // 000000006D00: D3B04048 1D225D98
	v_pk_fma_f32 v[74:75], v[154:155], v[46:47], v[74:75]      // 000000006D08: D3B0404A 1D2A5D9A
	v_pk_fma_f32 v[76:77], v[156:157], v[46:47], v[76:77]      // 000000006D10: D3B0404C 1D325D9C
	v_pk_fma_f32 v[78:79], v[158:159], v[46:47], v[78:79]      // 000000006D18: D3B0404E 1D3A5D9E
	s_waitcnt vmcnt(4)                                         // 000000006D20: BF8C0F74
	v_mfma_f32_16x16x128_f8f6f4 v[144:147], a[224:231], v[184:191], 0// 000000006D24: D3AD0090 0A0371E0
	buffer_load_dwordx4 a[96:99], v33, s[92:95], 0 offen offset:2048// 000000006D2C: E05C1800 80976021
	buffer_load_dwordx4 a[100:103], v33, s[92:95], 0 offen offset:3072// 000000006D34: E05C1C00 80976421
	buffer_load_dwordx4 a[104:107], v34, s[92:95], 0 offen offset:2048// 000000006D3C: E05C1800 80976822
	buffer_load_dwordx4 a[108:111], v34, s[92:95], 0 offen offset:3072// 000000006D44: E05C1C00 80976C22
	v_mfma_f32_16x16x128_f8f6f4 v[148:151], a[232:239], v[184:191], 0// 000000006D4C: D3AD0094 0A0371E8
	s_waitcnt lgkmcnt(0)                                       // 000000006D54: BF8CC07F
	s_barrier                                                  // 000000006D58: BF8A0000
	ds_read_b128 v[160:163], v2                                // 000000006D5C: D9FE0000 A0000002
	ds_read_b128 v[164:167], v2 offset:64                      // 000000006D64: D9FE0040 A4000002
	ds_read_b32 v15, v3 offset:4352                            // 000000006D6C: D86C1100 0F000003
	s_waitcnt vmcnt(4)                                         // 000000006D74: BF8C0F74
	v_mfma_f32_16x16x128_f8f6f4 v[152:155], a[240:247], v[184:191], 0// 000000006D78: D3AD0098 0A0371F0
	buffer_load_dwordx4 a[112:115], v35, s[92:95], 0 offen offset:2048// 000000006D80: E05C1800 80977023
	buffer_load_dwordx4 a[116:119], v35, s[92:95], 0 offen offset:3072// 000000006D88: E05C1C00 80977423
	buffer_load_dwordx4 a[120:123], v36, s[92:95], 0 offen offset:2048// 000000006D90: E05C1800 80977824
	buffer_load_dwordx4 a[124:127], v36, s[92:95], 0 offen offset:3072// 000000006D98: E05C1C00 80977C24
	v_mfma_f32_16x16x128_f8f6f4 v[156:159], a[248:255], v[184:191], 0// 000000006DA0: D3AD009C 0A0371F8
	ds_read_b128 v[168:171], v2 offset:512                     // 000000006DA8: D9FE0200 A8000002
	ds_read_b128 v[172:175], v2 offset:576                     // 000000006DB0: D9FE0240 AC000002
	ds_read_b32 v16, v3 offset:4608                            // 000000006DB8: D86C1200 10000003
	v_mul_f32_dpp v46, v22, v18 row_newbcast:2 row_mask:0xf bank_mask:0xf// 000000006DC0: 0A5C24FA FF015216
	v_mov_b32_e32 v47, v46                                     // 000000006DC8: 7E5E032E
	v_pk_fma_f32 v[64:65], v[144:145], v[46:47], v[64:65]      // 000000006DCC: D3B04040 1D025D90
	v_pk_fma_f32 v[66:67], v[146:147], v[46:47], v[66:67]      // 000000006DD4: D3B04042 1D0A5D92
	v_pk_fma_f32 v[68:69], v[148:149], v[46:47], v[68:69]      // 000000006DDC: D3B04044 1D125D94
	v_pk_fma_f32 v[70:71], v[150:151], v[46:47], v[70:71]      // 000000006DE4: D3B04046 1D1A5D96
	v_mul_f32_dpp v46, v22, v18 row_newbcast:3 row_mask:0xf bank_mask:0xf// 000000006DEC: 0A5C24FA FF015316
	v_mov_b32_e32 v47, v46                                     // 000000006DF4: 7E5E032E
	v_pk_fma_f32 v[72:73], v[152:153], v[46:47], v[72:73]      // 000000006DF8: D3B04048 1D225D98
	v_pk_fma_f32 v[74:75], v[154:155], v[46:47], v[74:75]      // 000000006E00: D3B0404A 1D2A5D9A
	v_pk_fma_f32 v[76:77], v[156:157], v[46:47], v[76:77]      // 000000006E08: D3B0404C 1D325D9C
	v_pk_fma_f32 v[78:79], v[158:159], v[46:47], v[78:79]      // 000000006E10: D3B0404E 1D3A5D9E
	s_add_u32 s60, 0x200, s80                                  // 000000006E18: 803C50FF 00000200
	s_cmp_lt_u32 s60, s81                                      // 000000006E20: BF0A513C
	s_cselect_b32 s57, s57, 0                                  // 000000006E24: 85398039
	s_add_u32 s60, 0x200, s80                                  // 000000006E28: 803C50FF 00000200
	s_cmp_lt_u32 s60, s81                                      // 000000006E30: BF0A513C
	s_cselect_b32 s58, s58, 0                                  // 000000006E34: 853A803A
	s_cselect_b32 s90, s90, 0                                  // 000000006E38: 855A805A
	s_add_u32 s20, s57, s20                                    // 000000006E3C: 80141439
	s_addc_u32 s21, 0, s21                                     // 000000006E40: 82151580
	s_add_u32 s24, s58, s24                                    // 000000006E44: 8018183A
	s_addc_u32 s25, 0, s25                                     // 000000006E48: 82191980
	s_add_u32 s92, s90, s92                                    // 000000006E4C: 805C5C5A
	s_addc_u32 s93, 0, s93                                     // 000000006E50: 825D5D80
	s_addk_i32 s80, 0x100                                      // 000000006E54: B7500100
	s_cmp_lt_i32 s80, s81                                      // 000000006E58: BF045150
	s_cbranch_scc0 label_1019                                  // 000000006E5C: BF840001
	s_branch label_0D38                                        // 000000006E60: BF82FD1F

0000000000006e64 <label_1019>:
	s_mov_b32 s20, 0                                           // 000000006E64: BE940080
	s_cmp_lt_u32 s89, s66                                      // 000000006E68: BF0A4259
	s_cselect_b32 s60, 0, 1                                    // 000000006E6C: 853C8180
	s_lshl1_add_u32 s20, s20, s60                              // 000000006E70: 97143C14
	s_cmp_lt_u32 s88, s66                                      // 000000006E74: BF0A4258
	s_cselect_b32 s60, 0, 1                                    // 000000006E78: 853C8180
	s_lshl1_add_u32 s20, s20, s60                              // 000000006E7C: 97143C14
	s_cmp_lt_u32 s87, s66                                      // 000000006E80: BF0A4257
	s_cselect_b32 s60, 0, 1                                    // 000000006E84: 853C8180
	s_lshl1_add_u32 s20, s20, s60                              // 000000006E88: 97143C14
	s_cmp_lt_u32 s86, s66                                      // 000000006E8C: BF0A4256
	s_cselect_b32 s60, 0, 1                                    // 000000006E90: 853C8180
	s_lshl1_add_u32 s20, s20, s60                              // 000000006E94: 97143C14
	s_cmp_lt_u32 s85, s66                                      // 000000006E98: BF0A4255
	s_cselect_b32 s60, 0, 1                                    // 000000006E9C: 853C8180
	s_lshl1_add_u32 s20, s20, s60                              // 000000006EA0: 97143C14
	s_cmp_lt_u32 s84, s66                                      // 000000006EA4: BF0A4254
	s_cselect_b32 s60, 0, 1                                    // 000000006EA8: 853C8180
	s_lshl1_add_u32 s20, s20, s60                              // 000000006EAC: 97143C14
	s_cmp_lt_u32 s83, s66                                      // 000000006EB0: BF0A4253
	s_cselect_b32 s60, 0, 1                                    // 000000006EB4: 853C8180
	s_lshl1_add_u32 s20, s20, s60                              // 000000006EB8: 97143C14
	s_cmp_lt_u32 s82, s66                                      // 000000006EBC: BF0A4252
	s_cselect_b32 s60, 0, 1                                    // 000000006EC0: 853C8180
	s_lshl1_add_u32 s20, s20, s60                              // 000000006EC4: 97143C14
	s_waitcnt vmcnt(12)                                        // 000000006EC8: BF8C0F7C
	buffer_load_dword v19, v6, s[16:19], 0 offen               // 000000006ECC: E0501000 80041306
	s_add_u32 s16, s79, s16                                    // 000000006ED4: 8010104F
	s_addc_u32 s17, 0, s17                                     // 000000006ED8: 82111180
	buffer_load_dwordx4 a[0:3], v37, s[12:15], 0 offen         // 000000006EDC: E05C1000 80830025
	buffer_load_dwordx4 a[4:7], v37, s[12:15], 0 offen offset:1024// 000000006EE4: E05C1400 80830425
	buffer_load_dwordx4 a[8:11], v38, s[12:15], 0 offen        // 000000006EEC: E05C1000 80830826
	buffer_load_dwordx4 a[12:15], v38, s[12:15], 0 offen offset:1024// 000000006EF4: E05C1400 80830C26
	v_mul_f32_e32 v46, v128, v128                              // 000000006EFC: 0A5D0180
	v_mul_f32_e32 v47, v129, v129                              // 000000006F00: 0A5F0381
	v_mul_f32_e32 v48, v130, v130                              // 000000006F04: 0A610582
	v_mul_f32_e32 v49, v131, v131                              // 000000006F08: 0A630783
	v_fma_f32 v46, v46, s77, v1                                // 000000006F0C: D1CB002E 04049B2E
	v_fma_f32 v47, v47, s77, v1                                // 000000006F14: D1CB002F 04049B2F
	v_fma_f32 v48, v48, s77, v1                                // 000000006F1C: D1CB0030 04049B30
	v_fma_f32 v49, v49, s77, v1                                // 000000006F24: D1CB0031 04049B31
	v_mul_f32_e32 v46, v46, v128                               // 000000006F2C: 0A5D012E
	v_mul_f32_e32 v47, v47, v129                               // 000000006F30: 0A5F032F
	v_mul_f32_e32 v48, v48, v130                               // 000000006F34: 0A610530
	v_mul_f32_e32 v49, v49, v131                               // 000000006F38: 0A630731
	v_mul_f32_e64 v46, v46, s6                                 // 000000006F3C: D105002E 00000D2E
	v_mul_f32_e64 v47, v47, s6                                 // 000000006F44: D105002F 00000D2F
	v_mul_f32_e64 v48, v48, s6                                 // 000000006F4C: D1050030 00000D30
	v_mul_f32_e64 v49, v49, s6                                 // 000000006F54: D1050031 00000D31
	v_exp_f32_e32 v46, v46                                     // 000000006F5C: 7E5C412E
	v_exp_f32_e32 v47, v47                                     // 000000006F60: 7E5E412F
	v_exp_f32_e32 v48, v48                                     // 000000006F64: 7E604130
	v_exp_f32_e32 v49, v49                                     // 000000006F68: 7E624131
	buffer_load_dwordx4 a[16:19], v39, s[12:15], 0 offen       // 000000006F6C: E05C1000 80831027
	buffer_load_dwordx4 a[20:23], v39, s[12:15], 0 offen offset:1024// 000000006F74: E05C1400 80831427
	buffer_load_dwordx4 a[24:27], v40, s[12:15], 0 offen       // 000000006F7C: E05C1000 80831828
	buffer_load_dwordx4 a[28:31], v40, s[12:15], 0 offen offset:1024// 000000006F84: E05C1400 80831C28
	s_add_u32 s12, s78, s12                                    // 000000006F8C: 800C0C4E
	s_addc_u32 s13, 0, s13                                     // 000000006F90: 820D0D80
	v_add_f32_e64 v46, v46, 1.0                                // 000000006F94: D101002E 0001E52E
	v_add_f32_e64 v47, v47, 1.0                                // 000000006F9C: D101002F 0001E52F
	v_add_f32_e64 v48, v48, 1.0                                // 000000006FA4: D1010030 0001E530
	v_add_f32_e64 v49, v49, 1.0                                // 000000006FAC: D1010031 0001E531
	v_rcp_f32_e32 v46, v46                                     // 000000006FB4: 7E5C452E
	v_rcp_f32_e32 v47, v47                                     // 000000006FB8: 7E5E452F
	v_rcp_f32_e32 v48, v48                                     // 000000006FBC: 7E604530
	v_rcp_f32_e32 v49, v49                                     // 000000006FC0: 7E624531
	v_mul_f32_e32 v128, v128, v46                              // 000000006FC4: 0B005D80
	v_mul_f32_e32 v129, v129, v47                              // 000000006FC8: 0B025F81
	v_mul_f32_e32 v130, v130, v48                              // 000000006FCC: 0B046182
	v_mul_f32_e32 v131, v131, v49                              // 000000006FD0: 0B066383
	v_mul_f32_e32 v128, v128, v64                              // 000000006FD4: 0B008180
	v_mul_f32_e32 v129, v129, v65                              // 000000006FD8: 0B028381
	v_mul_f32_e32 v130, v130, v66                              // 000000006FDC: 0B048582
	v_mul_f32_e32 v131, v131, v67                              // 000000006FE0: 0B068783
	s_waitcnt vmcnt(12)                                        // 000000006FE4: BF8C0F7C
	buffer_load_dwordx4 a[32:35], v37, s[12:15], 0 offen       // 000000006FE8: E05C1000 80832025
	buffer_load_dwordx4 a[36:39], v37, s[12:15], 0 offen offset:1024// 000000006FF0: E05C1400 80832425
	buffer_load_dwordx4 a[40:43], v38, s[12:15], 0 offen       // 000000006FF8: E05C1000 80832826
	buffer_load_dwordx4 a[44:47], v38, s[12:15], 0 offen offset:1024// 000000007000: E05C1400 80832C26
	v_mul_f32_e32 v46, v132, v132                              // 000000007008: 0A5D0984
	v_mul_f32_e32 v47, v133, v133                              // 00000000700C: 0A5F0B85
	v_mul_f32_e32 v48, v134, v134                              // 000000007010: 0A610D86
	v_mul_f32_e32 v49, v135, v135                              // 000000007014: 0A630F87
	v_fma_f32 v46, v46, s77, v1                                // 000000007018: D1CB002E 04049B2E
	v_fma_f32 v47, v47, s77, v1                                // 000000007020: D1CB002F 04049B2F
	v_fma_f32 v48, v48, s77, v1                                // 000000007028: D1CB0030 04049B30
	v_fma_f32 v49, v49, s77, v1                                // 000000007030: D1CB0031 04049B31
	v_mul_f32_e32 v46, v46, v132                               // 000000007038: 0A5D092E
	v_mul_f32_e32 v47, v47, v133                               // 00000000703C: 0A5F0B2F
	v_mul_f32_e32 v48, v48, v134                               // 000000007040: 0A610D30
	v_mul_f32_e32 v49, v49, v135                               // 000000007044: 0A630F31
	v_mul_f32_e64 v46, v46, s6                                 // 000000007048: D105002E 00000D2E
	v_mul_f32_e64 v47, v47, s6                                 // 000000007050: D105002F 00000D2F
	v_mul_f32_e64 v48, v48, s6                                 // 000000007058: D1050030 00000D30
	v_mul_f32_e64 v49, v49, s6                                 // 000000007060: D1050031 00000D31
	v_exp_f32_e32 v46, v46                                     // 000000007068: 7E5C412E
	v_exp_f32_e32 v47, v47                                     // 00000000706C: 7E5E412F
	v_exp_f32_e32 v48, v48                                     // 000000007070: 7E604130
	v_exp_f32_e32 v49, v49                                     // 000000007074: 7E624131
	buffer_load_dwordx4 a[48:51], v39, s[12:15], 0 offen       // 000000007078: E05C1000 80833027
	buffer_load_dwordx4 a[52:55], v39, s[12:15], 0 offen offset:1024// 000000007080: E05C1400 80833427
	buffer_load_dwordx4 a[56:59], v40, s[12:15], 0 offen       // 000000007088: E05C1000 80833828
	buffer_load_dwordx4 a[60:63], v40, s[12:15], 0 offen offset:1024// 000000007090: E05C1400 80833C28
	s_add_u32 s12, s56, s12                                    // 000000007098: 800C0C38
	s_addc_u32 s13, 0, s13                                     // 00000000709C: 820D0D80
	v_add_f32_e64 v46, v46, 1.0                                // 0000000070A0: D101002E 0001E52E
	v_add_f32_e64 v47, v47, 1.0                                // 0000000070A8: D101002F 0001E52F
	v_add_f32_e64 v48, v48, 1.0                                // 0000000070B0: D1010030 0001E530
	v_add_f32_e64 v49, v49, 1.0                                // 0000000070B8: D1010031 0001E531
	v_rcp_f32_e32 v46, v46                                     // 0000000070C0: 7E5C452E
	v_rcp_f32_e32 v47, v47                                     // 0000000070C4: 7E5E452F
	v_rcp_f32_e32 v48, v48                                     // 0000000070C8: 7E604530
	v_rcp_f32_e32 v49, v49                                     // 0000000070CC: 7E624531
	v_mul_f32_e32 v132, v132, v46                              // 0000000070D0: 0B085D84
	v_mul_f32_e32 v133, v133, v47                              // 0000000070D4: 0B0A5F85
	v_mul_f32_e32 v134, v134, v48                              // 0000000070D8: 0B0C6186
	v_mul_f32_e32 v135, v135, v49                              // 0000000070DC: 0B0E6387
	v_mul_f32_e32 v132, v132, v68                              // 0000000070E0: 0B088984
	v_mul_f32_e32 v133, v133, v69                              // 0000000070E4: 0B0A8B85
	v_mul_f32_e32 v134, v134, v70                              // 0000000070E8: 0B0C8D86
	v_mul_f32_e32 v135, v135, v71                              // 0000000070EC: 0B0E8F87
	s_waitcnt vmcnt(12)                                        // 0000000070F0: BF8C0F7C
	buffer_load_dword v20, v6, s[16:19], 0 offen               // 0000000070F4: E0501000 80041406
	s_add_u32 s16, s79, s16                                    // 0000000070FC: 8010104F
	s_addc_u32 s17, 0, s17                                     // 000000007100: 82111180
	buffer_load_dwordx4 a[64:67], v37, s[12:15], 0 offen       // 000000007104: E05C1000 80834025
	buffer_load_dwordx4 a[68:71], v37, s[12:15], 0 offen offset:1024// 00000000710C: E05C1400 80834425
	buffer_load_dwordx4 a[72:75], v38, s[12:15], 0 offen       // 000000007114: E05C1000 80834826
	buffer_load_dwordx4 a[76:79], v38, s[12:15], 0 offen offset:1024// 00000000711C: E05C1400 80834C26
	v_mul_f32_e32 v46, v136, v136                              // 000000007124: 0A5D1188
	v_mul_f32_e32 v47, v137, v137                              // 000000007128: 0A5F1389
	v_mul_f32_e32 v48, v138, v138                              // 00000000712C: 0A61158A
	v_mul_f32_e32 v49, v139, v139                              // 000000007130: 0A63178B
	v_fma_f32 v46, v46, s77, v1                                // 000000007134: D1CB002E 04049B2E
	v_fma_f32 v47, v47, s77, v1                                // 00000000713C: D1CB002F 04049B2F
	v_fma_f32 v48, v48, s77, v1                                // 000000007144: D1CB0030 04049B30
	v_fma_f32 v49, v49, s77, v1                                // 00000000714C: D1CB0031 04049B31
	v_mul_f32_e32 v46, v46, v136                               // 000000007154: 0A5D112E
	v_mul_f32_e32 v47, v47, v137                               // 000000007158: 0A5F132F
	v_mul_f32_e32 v48, v48, v138                               // 00000000715C: 0A611530
	v_mul_f32_e32 v49, v49, v139                               // 000000007160: 0A631731
	v_mul_f32_e64 v46, v46, s6                                 // 000000007164: D105002E 00000D2E
	v_mul_f32_e64 v47, v47, s6                                 // 00000000716C: D105002F 00000D2F
	v_mul_f32_e64 v48, v48, s6                                 // 000000007174: D1050030 00000D30
	v_mul_f32_e64 v49, v49, s6                                 // 00000000717C: D1050031 00000D31
	v_exp_f32_e32 v46, v46                                     // 000000007184: 7E5C412E
	v_exp_f32_e32 v47, v47                                     // 000000007188: 7E5E412F
	v_exp_f32_e32 v48, v48                                     // 00000000718C: 7E604130
	v_exp_f32_e32 v49, v49                                     // 000000007190: 7E624131
	buffer_load_dwordx4 a[80:83], v39, s[12:15], 0 offen       // 000000007194: E05C1000 80835027
	buffer_load_dwordx4 a[84:87], v39, s[12:15], 0 offen offset:1024// 00000000719C: E05C1400 80835427
	buffer_load_dwordx4 a[88:91], v40, s[12:15], 0 offen       // 0000000071A4: E05C1000 80835828
	buffer_load_dwordx4 a[92:95], v40, s[12:15], 0 offen offset:1024// 0000000071AC: E05C1400 80835C28
	s_add_u32 s12, s78, s12                                    // 0000000071B4: 800C0C4E
	s_addc_u32 s13, 0, s13                                     // 0000000071B8: 820D0D80
	v_add_f32_e64 v46, v46, 1.0                                // 0000000071BC: D101002E 0001E52E
	v_add_f32_e64 v47, v47, 1.0                                // 0000000071C4: D101002F 0001E52F
	v_add_f32_e64 v48, v48, 1.0                                // 0000000071CC: D1010030 0001E530
	v_add_f32_e64 v49, v49, 1.0                                // 0000000071D4: D1010031 0001E531
	v_rcp_f32_e32 v46, v46                                     // 0000000071DC: 7E5C452E
	v_rcp_f32_e32 v47, v47                                     // 0000000071E0: 7E5E452F
	v_rcp_f32_e32 v48, v48                                     // 0000000071E4: 7E604530
	v_rcp_f32_e32 v49, v49                                     // 0000000071E8: 7E624531
	v_mul_f32_e32 v136, v136, v46                              // 0000000071EC: 0B105D88
	v_mul_f32_e32 v137, v137, v47                              // 0000000071F0: 0B125F89
	v_mul_f32_e32 v138, v138, v48                              // 0000000071F4: 0B14618A
	v_mul_f32_e32 v139, v139, v49                              // 0000000071F8: 0B16638B
	v_mul_f32_e32 v136, v136, v72                              // 0000000071FC: 0B109188
	v_mul_f32_e32 v137, v137, v73                              // 000000007200: 0B129389
	v_mul_f32_e32 v138, v138, v74                              // 000000007204: 0B14958A
	v_mul_f32_e32 v139, v139, v75                              // 000000007208: 0B16978B
	s_waitcnt vmcnt(12)                                        // 00000000720C: BF8C0F7C
	buffer_load_dwordx4 a[96:99], v37, s[12:15], 0 offen       // 000000007210: E05C1000 80836025
	buffer_load_dwordx4 a[100:103], v37, s[12:15], 0 offen offset:1024// 000000007218: E05C1400 80836425
	buffer_load_dwordx4 a[104:107], v38, s[12:15], 0 offen     // 000000007220: E05C1000 80836826
	buffer_load_dwordx4 a[108:111], v38, s[12:15], 0 offen offset:1024// 000000007228: E05C1400 80836C26
	v_mul_f32_e32 v46, v140, v140                              // 000000007230: 0A5D198C
	v_mul_f32_e32 v47, v141, v141                              // 000000007234: 0A5F1B8D
	v_mul_f32_e32 v48, v142, v142                              // 000000007238: 0A611D8E
	v_mul_f32_e32 v49, v143, v143                              // 00000000723C: 0A631F8F
	v_fma_f32 v46, v46, s77, v1                                // 000000007240: D1CB002E 04049B2E
	v_fma_f32 v47, v47, s77, v1                                // 000000007248: D1CB002F 04049B2F
	v_fma_f32 v48, v48, s77, v1                                // 000000007250: D1CB0030 04049B30
	v_fma_f32 v49, v49, s77, v1                                // 000000007258: D1CB0031 04049B31
	v_mul_f32_e32 v46, v46, v140                               // 000000007260: 0A5D192E
	v_mul_f32_e32 v47, v47, v141                               // 000000007264: 0A5F1B2F
	v_mul_f32_e32 v48, v48, v142                               // 000000007268: 0A611D30
	v_mul_f32_e32 v49, v49, v143                               // 00000000726C: 0A631F31
	v_mul_f32_e64 v46, v46, s6                                 // 000000007270: D105002E 00000D2E
	v_mul_f32_e64 v47, v47, s6                                 // 000000007278: D105002F 00000D2F
	v_mul_f32_e64 v48, v48, s6                                 // 000000007280: D1050030 00000D30
	v_mul_f32_e64 v49, v49, s6                                 // 000000007288: D1050031 00000D31
	v_exp_f32_e32 v46, v46                                     // 000000007290: 7E5C412E
	v_exp_f32_e32 v47, v47                                     // 000000007294: 7E5E412F
	v_exp_f32_e32 v48, v48                                     // 000000007298: 7E604130
	v_exp_f32_e32 v49, v49                                     // 00000000729C: 7E624131
	buffer_load_dwordx4 a[112:115], v39, s[12:15], 0 offen     // 0000000072A0: E05C1000 80837027
	buffer_load_dwordx4 a[116:119], v39, s[12:15], 0 offen offset:1024// 0000000072A8: E05C1400 80837427
	buffer_load_dwordx4 a[120:123], v40, s[12:15], 0 offen     // 0000000072B0: E05C1000 80837828
	buffer_load_dwordx4 a[124:127], v40, s[12:15], 0 offen offset:1024// 0000000072B8: E05C1400 80837C28
	s_add_u32 s12, s56, s12                                    // 0000000072C0: 800C0C38
	s_addc_u32 s13, 0, s13                                     // 0000000072C4: 820D0D80
	v_add_f32_e64 v46, v46, 1.0                                // 0000000072C8: D101002E 0001E52E
	v_add_f32_e64 v47, v47, 1.0                                // 0000000072D0: D101002F 0001E52F
	v_add_f32_e64 v48, v48, 1.0                                // 0000000072D8: D1010030 0001E530
	v_add_f32_e64 v49, v49, 1.0                                // 0000000072E0: D1010031 0001E531
	v_rcp_f32_e32 v46, v46                                     // 0000000072E8: 7E5C452E
	v_rcp_f32_e32 v47, v47                                     // 0000000072EC: 7E5E452F
	v_rcp_f32_e32 v48, v48                                     // 0000000072F0: 7E604530
	v_rcp_f32_e32 v49, v49                                     // 0000000072F4: 7E624531
	v_mul_f32_e32 v140, v140, v46                              // 0000000072F8: 0B185D8C
	v_mul_f32_e32 v141, v141, v47                              // 0000000072FC: 0B1A5F8D
	v_mul_f32_e32 v142, v142, v48                              // 000000007300: 0B1C618E
	v_mul_f32_e32 v143, v143, v49                              // 000000007304: 0B1E638F
	v_mul_f32_e32 v140, v140, v76                              // 000000007308: 0B18998C
	v_mul_f32_e32 v141, v141, v77                              // 00000000730C: 0B1A9B8D
	v_mul_f32_e32 v142, v142, v78                              // 000000007310: 0B1C9D8E
	v_mul_f32_e32 v143, v143, v79                              // 000000007314: 0B1E9F8F
	v_lshlrev_b32_e32 v46, 2, v0                               // 000000007318: 245C0082
	s_mul_i32 s60, s82, s71                                    // 00000000731C: 923C4752
	v_add_u32_e64 v80, v46, s60                                // 000000007320: D1340050 0000792E
	v_mov_b32_e32 v81, 0                                       // 000000007328: 7EA20280
	s_mul_i32 s60, s83, s71                                    // 00000000732C: 923C4753
	v_add_u32_e64 v82, v46, s60                                // 000000007330: D1340052 0000792E
	v_mov_b32_e32 v83, 0                                       // 000000007338: 7EA60280
	s_mul_i32 s60, s84, s71                                    // 00000000733C: 923C4754
	v_add_u32_e64 v84, v46, s60                                // 000000007340: D1340054 0000792E
	v_mov_b32_e32 v85, 0                                       // 000000007348: 7EAA0280
	s_mul_i32 s60, s85, s71                                    // 00000000734C: 923C4755
	v_add_u32_e64 v86, v46, s60                                // 000000007350: D1340056 0000792E
	v_mov_b32_e32 v87, 0                                       // 000000007358: 7EAE0280
	v_mov_b32_e32 v26, 0x358637bd                              // 00000000735C: 7E3402FF 358637BD
	v_max3_f32 v26, |v128|, |v129|, v26                        // 000000007364: D1D3031A 046B0380
	v_max3_f32 v26, |v130|, |v131|, v26                        // 00000000736C: D1D3031A 046B0782
	v_max3_f32 v26, |v132|, |v133|, v26                        // 000000007374: D1D3031A 046B0B84
	v_max3_f32 v26, |v134|, |v135|, v26                        // 00000000737C: D1D3031A 046B0F86
	v_mov_b32_e32 v46, v26                                     // 000000007384: 7E5C031A
	s_nop 1                                                    // 000000007388: BF800001
	v_permlane32_swap_b32_e32 v46, v26                         // 00000000738C: 7E5CB51A
	v_max_f32_e32 v26, v46, v26                                // 000000007390: 1634352E
	v_mov_b32_e32 v46, v26                                     // 000000007394: 7E5C031A
	s_nop 1                                                    // 000000007398: BF800001
	v_permlane16_swap_b32_e32 v46, v26                         // 00000000739C: 7E5CB31A
	v_max_f32_e32 v26, v46, v26                                // 0000000073A0: 1634352E
	v_lshlrev_b32_e32 v46, 2, v0                               // 0000000073A4: 245C0082
	s_mul_i32 s60, 64, s7                                      // 0000000073A8: 923C07C0
	v_add_u32_e32 v46, s60, v46                                // 0000000073AC: 685C5C3C
	s_mov_b32 s60, 0xffff                                      // 0000000073B0: BEBC00FF 0000FFFF
	s_mov_b32 s61, 0                                           // 0000000073B8: BEBD0080
	s_mov_b64 exec, s[60:61]                                   // 0000000073BC: BEFE013C
	ds_write_b32 v46, v26 offset:10752                         // 0000000073C0: D81A2A00 00001A2E
	s_mov_b32 s60, -1                                          // 0000000073C8: BEBC00C1
	s_mov_b32 s61, -1                                          // 0000000073CC: BEBD00C1
	s_mov_b64 exec, s[60:61]                                   // 0000000073D0: BEFE013C
	s_waitcnt lgkmcnt(0)                                       // 0000000073D4: BF8CC07F
	s_barrier                                                  // 0000000073D8: BF8A0000
	v_lshlrev_b32_e32 v46, 2, v0                               // 0000000073DC: 245C0082
	ds_read_b32 v144, v46 offset:10752                         // 0000000073E0: D86C2A00 9000002E
	s_waitcnt lgkmcnt(0)                                       // 0000000073E8: BF8CC07F
	v_mov_b32_e32 v46, v144                                    // 0000000073EC: 7E5C0390
	s_nop 1                                                    // 0000000073F0: BF800001
	v_permlane32_swap_b32_e32 v46, v144                        // 0000000073F4: 7E5CB590
	v_max_f32_e32 v144, v46, v144                              // 0000000073F8: 1721212E
	v_mov_b32_e32 v46, v144                                    // 0000000073FC: 7E5C0390
	s_nop 1                                                    // 000000007400: BF800001
	v_permlane16_swap_b32_e32 v46, v144                        // 000000007404: 7E5CB390
	v_max_f32_e32 v144, v46, v144                              // 000000007408: 1721212E
	v_max_f32_e32 v26, v144, v26                               // 00000000740C: 16343590
	v_rcp_f32_e32 v26, v26                                     // 000000007410: 7E34451A
	v_mov_b32_e32 v46, 0x43e00000                              // 000000007414: 7E5C02FF 43E00000
	v_mul_f32_e32 v26, v46, v26                                // 00000000741C: 0A34352E
	v_mul_f32_e32 v128, v26, v128                              // 000000007420: 0B01011A
	v_mul_f32_e32 v129, v26, v129                              // 000000007424: 0B03031A
	v_mul_f32_e32 v130, v26, v130                              // 000000007428: 0B05051A
	v_mul_f32_e32 v131, v26, v131                              // 00000000742C: 0B07071A
	v_cvt_pk_fp8_f32 v128, v128, v129                          // 000000007430: D2A20080 00030380
	v_cvt_pk_fp8_f32 v128, v130, v131 op_sel:[0,0,1]           // 000000007438: D2A24080 00030782
	v_mul_f32_e32 v132, v26, v132                              // 000000007440: 0B09091A
	v_mul_f32_e32 v133, v26, v133                              // 000000007444: 0B0B0B1A
	v_mul_f32_e32 v134, v26, v134                              // 000000007448: 0B0D0D1A
	v_mul_f32_e32 v135, v26, v135                              // 00000000744C: 0B0F0F1A
	v_cvt_pk_fp8_f32 v129, v132, v133                          // 000000007450: D2A20081 00030B84
	v_cvt_pk_fp8_f32 v129, v134, v135 op_sel:[0,0,1]           // 000000007458: D2A24081 00030F86
	v_rcp_f32_e32 v28, v26                                     // 000000007460: 7E38451A
	v_nop                                                      // 000000007464: 7E000000
	v_mov_b32_e32 v26, 0x358637bd                              // 000000007468: 7E3402FF 358637BD
	v_max3_f32 v26, |v136|, |v137|, v26                        // 000000007470: D1D3031A 046B1388
	v_max3_f32 v26, |v138|, |v139|, v26                        // 000000007478: D1D3031A 046B178A
	v_max3_f32 v26, |v140|, |v141|, v26                        // 000000007480: D1D3031A 046B1B8C
	v_max3_f32 v26, |v142|, |v143|, v26                        // 000000007488: D1D3031A 046B1F8E
	v_mov_b32_e32 v46, v26                                     // 000000007490: 7E5C031A
	s_nop 1                                                    // 000000007494: BF800001
	v_permlane32_swap_b32_e32 v46, v26                         // 000000007498: 7E5CB51A
	v_max_f32_e32 v26, v46, v26                                // 00000000749C: 1634352E
	v_mov_b32_e32 v46, v26                                     // 0000000074A0: 7E5C031A
	s_nop 1                                                    // 0000000074A4: BF800001
	v_permlane16_swap_b32_e32 v46, v26                         // 0000000074A8: 7E5CB31A
	v_max_f32_e32 v26, v46, v26                                // 0000000074AC: 1634352E
	v_lshlrev_b32_e32 v46, 2, v0                               // 0000000074B0: 245C0082
	s_mul_i32 s60, 64, s7                                      // 0000000074B4: 923C07C0
	v_add_u32_e32 v46, s60, v46                                // 0000000074B8: 685C5C3C
	s_mov_b32 s60, 0xffff                                      // 0000000074BC: BEBC00FF 0000FFFF
	s_mov_b32 s61, 0                                           // 0000000074C4: BEBD0080
	s_mov_b64 exec, s[60:61]                                   // 0000000074C8: BEFE013C
	ds_write_b32 v46, v26 offset:10752                         // 0000000074CC: D81A2A00 00001A2E
	s_mov_b32 s60, -1                                          // 0000000074D4: BEBC00C1
	s_mov_b32 s61, -1                                          // 0000000074D8: BEBD00C1
	s_mov_b64 exec, s[60:61]                                   // 0000000074DC: BEFE013C
	s_waitcnt lgkmcnt(0)                                       // 0000000074E0: BF8CC07F
	s_barrier                                                  // 0000000074E4: BF8A0000
	v_lshlrev_b32_e32 v46, 2, v0                               // 0000000074E8: 245C0082
	ds_read_b32 v144, v46 offset:10752                         // 0000000074EC: D86C2A00 9000002E
	s_waitcnt lgkmcnt(0)                                       // 0000000074F4: BF8CC07F
	v_mov_b32_e32 v46, v144                                    // 0000000074F8: 7E5C0390
	s_nop 1                                                    // 0000000074FC: BF800001
	v_permlane32_swap_b32_e32 v46, v144                        // 000000007500: 7E5CB590
	v_max_f32_e32 v144, v46, v144                              // 000000007504: 1721212E
	v_mov_b32_e32 v46, v144                                    // 000000007508: 7E5C0390
	s_nop 1                                                    // 00000000750C: BF800001
	v_permlane16_swap_b32_e32 v46, v144                        // 000000007510: 7E5CB390
	v_max_f32_e32 v144, v46, v144                              // 000000007514: 1721212E
	v_max_f32_e32 v26, v144, v26                               // 000000007518: 16343590
	v_rcp_f32_e32 v26, v26                                     // 00000000751C: 7E34451A
	v_mov_b32_e32 v46, 0x43e00000                              // 000000007520: 7E5C02FF 43E00000
	v_mul_f32_e32 v26, v46, v26                                // 000000007528: 0A34352E
	v_mul_f32_e32 v136, v26, v136                              // 00000000752C: 0B11111A
	v_mul_f32_e32 v137, v26, v137                              // 000000007530: 0B13131A
	v_mul_f32_e32 v138, v26, v138                              // 000000007534: 0B15151A
	v_mul_f32_e32 v139, v26, v139                              // 000000007538: 0B17171A
	v_cvt_pk_fp8_f32 v130, v136, v137                          // 00000000753C: D2A20082 00031388
	v_cvt_pk_fp8_f32 v130, v138, v139 op_sel:[0,0,1]           // 000000007544: D2A24082 0003178A
	v_mul_f32_e32 v140, v26, v140                              // 00000000754C: 0B19191A
	v_mul_f32_e32 v141, v26, v141                              // 000000007550: 0B1B1B1A
	v_mul_f32_e32 v142, v26, v142                              // 000000007554: 0B1D1D1A
	v_mul_f32_e32 v143, v26, v143                              // 000000007558: 0B1F1F1A
	v_cvt_pk_fp8_f32 v131, v140, v141                          // 00000000755C: D2A20083 00031B8C
	v_cvt_pk_fp8_f32 v131, v142, v143 op_sel:[0,0,1]           // 000000007564: D2A24083 00031F8E
	v_rcp_f32_e32 v29, v26                                     // 00000000756C: 7E3A451A
	v_nop                                                      // 000000007570: 7E000000
	v_lshrrev_b32_e32 v46, 5, v0                               // 000000007574: 205C0085
	v_lshlrev_b32_e32 v47, 6, v46                              // 000000007578: 245E5C86
	v_and_b32_e32 v46, 31, v0                                  // 00000000757C: 265C009F
	v_lshrrev_b32_e32 v48, 4, v46                              // 000000007580: 20605C84
	v_add_u32_e32 v47, v48, v47                                // 000000007584: 685E5F30
	v_and_b32_e32 v46, 15, v0                                  // 000000007588: 265C008F
	v_lshlrev_b32_e32 v46, 1, v46                              // 00000000758C: 245C5C81
	v_add_u32_e32 v47, v46, v47                                // 000000007590: 685E5F2E
	v_lshlrev_b32_e32 v46, 2, v47                              // 000000007594: 245C5E82
	s_mov_b32 s60, 0                                           // 000000007598: BEBC0080
	s_lshr_b32 s61, s7, 1                                      // 00000000759C: 8F3D8107
	s_mul_i32 s61, s61, 0x200                                  // 0000000075A0: 923DFF3D 00000200
	s_add_u32 s60, s61, s60                                    // 0000000075A8: 803C3C3D
	s_and_b32 s61, s7, 1                                       // 0000000075AC: 863D8107
	s_mul_i32 s61, s61, 0x80                                   // 0000000075B0: 923DFF3D 00000080
	s_add_u32 s60, s61, s60                                    // 0000000075B8: 803C3C3D
	v_add_u32_e64 v46, v46, s60                                // 0000000075BC: D134002E 0000792E
	ds_write_b32 v46, v128 offset:11776                        // 0000000075C4: D81A2E00 0000802E
	ds_write_b32 v46, v129 offset:12800                        // 0000000075CC: D81A3200 0000812E
	ds_write_b32 v46, v130 offset:13824                        // 0000000075D4: D81A3600 0000822E
	ds_write_b32 v46, v131 offset:14848                        // 0000000075DC: D81A3A00 0000832E
	s_waitcnt lgkmcnt(0)                                       // 0000000075E4: BF8CC07F
	s_barrier                                                  // 0000000075E8: BF8A0000
	v_and_b32_e32 v46, 31, v0                                  // 0000000075EC: 265C009F
	v_lshrrev_b32_e32 v46, 4, v46                              // 0000000075F0: 205C5C84
	v_lshlrev_b32_e32 v47, 5, v46                              // 0000000075F4: 245E5C85
	v_lshrrev_b32_e32 v46, 5, v0                               // 0000000075F8: 205C0085
	v_lshlrev_b32_e32 v46, 7, v46                              // 0000000075FC: 245C5C87
	v_add_u32_e32 v47, v46, v47                                // 000000007600: 685E5F2E
	v_and_b32_e32 v46, 15, v0                                  // 000000007604: 265C008F
	v_lshlrev_b32_e32 v46, 1, v46                              // 000000007608: 245C5C81
	v_add_u32_e32 v47, v46, v47                                // 00000000760C: 685E5F2E
	v_lshlrev_b32_e32 v46, 2, v47                              // 000000007610: 245C5E82
	ds_read_b64 v[128:129], v46 offset:11776                   // 000000007614: D8EC2E00 8000002E
	ds_read_b64 v[130:131], v46 offset:12032                   // 00000000761C: D8EC2F00 8200002E
	ds_read_b64 v[132:133], v46 offset:12800                   // 000000007624: D8EC3200 8400002E
	ds_read_b64 v[134:135], v46 offset:13056                   // 00000000762C: D8EC3300 8600002E
	ds_read_b64 v[136:137], v46 offset:13824                   // 000000007634: D8EC3600 8800002E
	ds_read_b64 v[138:139], v46 offset:14080                   // 00000000763C: D8EC3700 8A00002E
	ds_read_b64 v[140:141], v46 offset:14848                   // 000000007644: D8EC3A00 8C00002E
	ds_read_b64 v[142:143], v46 offset:15104                   // 00000000764C: D8EC3B00 8E00002E
	s_waitcnt lgkmcnt(0)                                       // 000000007654: BF8CC07F
	s_barrier                                                  // 000000007658: BF8A0000
	v_mov_b32_e32 v160, 0                                      // 00000000765C: 7F400280
	v_mov_b32_e32 v176, 0                                      // 000000007660: 7F600280
	v_mov_b32_e32 v161, 0                                      // 000000007664: 7F420280
	v_mov_b32_e32 v177, 0                                      // 000000007668: 7F620280
	v_mov_b32_e32 v162, 0                                      // 00000000766C: 7F440280
	v_mov_b32_e32 v178, 0                                      // 000000007670: 7F640280
	v_mov_b32_e32 v163, 0                                      // 000000007674: 7F460280
	v_mov_b32_e32 v179, 0                                      // 000000007678: 7F660280
	v_mov_b32_e32 v164, 0                                      // 00000000767C: 7F480280
	v_mov_b32_e32 v180, 0                                      // 000000007680: 7F680280
	v_mov_b32_e32 v165, 0                                      // 000000007684: 7F4A0280
	v_mov_b32_e32 v181, 0                                      // 000000007688: 7F6A0280
	v_mov_b32_e32 v166, 0                                      // 00000000768C: 7F4C0280
	v_mov_b32_e32 v182, 0                                      // 000000007690: 7F6C0280
	v_mov_b32_e32 v167, 0                                      // 000000007694: 7F4E0280
	v_mov_b32_e32 v183, 0                                      // 000000007698: 7F6E0280
	v_mov_b32_e32 v168, 0                                      // 00000000769C: 7F500280
	v_mov_b32_e32 v184, 0                                      // 0000000076A0: 7F700280
	v_mov_b32_e32 v169, 0                                      // 0000000076A4: 7F520280
	v_mov_b32_e32 v185, 0                                      // 0000000076A8: 7F720280
	v_mov_b32_e32 v170, 0                                      // 0000000076AC: 7F540280
	v_mov_b32_e32 v186, 0                                      // 0000000076B0: 7F740280
	v_mov_b32_e32 v171, 0                                      // 0000000076B4: 7F560280
	v_mov_b32_e32 v187, 0                                      // 0000000076B8: 7F760280
	v_mov_b32_e32 v172, 0                                      // 0000000076BC: 7F580280
	v_mov_b32_e32 v188, 0                                      // 0000000076C0: 7F780280
	v_mov_b32_e32 v173, 0                                      // 0000000076C4: 7F5A0280
	v_mov_b32_e32 v189, 0                                      // 0000000076C8: 7F7A0280
	v_mov_b32_e32 v174, 0                                      // 0000000076CC: 7F5C0280
	v_mov_b32_e32 v190, 0                                      // 0000000076D0: 7F7C0280
	v_mov_b32_e32 v175, 0                                      // 0000000076D4: 7F5E0280
	v_mov_b32_e32 v191, 0                                      // 0000000076D8: 7F7E0280
	ds_write_b64 v4, v[160:161] offset:11776                   // 0000000076DC: D89A2E00 0000A004
	ds_write_b64 v4, v[162:163] offset:13952                   // 0000000076E4: D89A3680 0000A204
	ds_write_b64 v4, v[164:165] offset:16128                   // 0000000076EC: D89A3F00 0000A404
	ds_write_b64 v4, v[166:167] offset:18304                   // 0000000076F4: D89A4780 0000A604
	s_mov_b32 s80, 0                                           // 0000000076FC: BED00080

0000000000007700 <label_1240>:
	s_waitcnt vmcnt(29) lgkmcnt(0)                             // 000000007700: BF8C407D
	s_barrier                                                  // 000000007704: BF8A0000
	v_mfma_f32_16x16x128_f8f6f4 v[160:163], a[0:7], v[128:135], 0// 000000007708: D3AD00A0 0A030100
	buffer_load_dword v21, v6, s[16:19], 0 offen               // 000000007710: E0501000 80041506
	buffer_load_dwordx4 a[128:131], v37, s[12:15], 0 offen     // 000000007718: E05C1000 80838025
	buffer_load_dwordx4 a[132:135], v37, s[12:15], 0 offen offset:1024// 000000007720: E05C1400 80838425
	buffer_load_dwordx4 a[136:139], v38, s[12:15], 0 offen     // 000000007728: E05C1000 80838826
	buffer_load_dwordx4 a[140:143], v38, s[12:15], 0 offen offset:1024// 000000007730: E05C1400 80838C26
	v_mfma_f32_16x16x128_f8f6f4 v[164:167], a[8:15], v[128:135], 0// 000000007738: D3AD00A4 0A030108
	ds_read_b32 v64, v5 offset:11776                           // 000000007740: D86C2E00 40000005
	ds_read_b32 v65, v5 offset:16128                           // 000000007748: D86C3F00 41000005
	ds_read_b32 v66, v5 offset:11784                           // 000000007750: D86C2E08 42000005
	ds_read_b32 v67, v5 offset:16136                           // 000000007758: D86C3F08 43000005
	ds_read_b32 v68, v5 offset:11808                           // 000000007760: D86C2E20 44000005
	ds_read_b32 v69, v5 offset:16160                           // 000000007768: D86C3F20 45000005
	ds_read_b32 v70, v5 offset:11816                           // 000000007770: D86C2E28 46000005
	ds_read_b32 v71, v5 offset:16168                           // 000000007778: D86C3F28 47000005
	s_waitcnt vmcnt(29)                                        // 000000007780: BF8C4F7D
	v_mfma_f32_16x16x128_f8f6f4 v[168:171], a[16:23], v[128:135], 0// 000000007784: D3AD00A8 0A030110
	buffer_load_dwordx4 a[144:147], v39, s[12:15], 0 offen     // 00000000778C: E05C1000 80839027
	buffer_load_dwordx4 a[148:151], v39, s[12:15], 0 offen offset:1024// 000000007794: E05C1400 80839427
	buffer_load_dwordx4 a[152:155], v40, s[12:15], 0 offen     // 00000000779C: E05C1000 80839828
	buffer_load_dwordx4 a[156:159], v40, s[12:15], 0 offen offset:1024// 0000000077A4: E05C1400 80839C28
	s_add_u32 s12, s78, s12                                    // 0000000077AC: 800C0C4E
	s_addc_u32 s13, 0, s13                                     // 0000000077B0: 820D0D80
	v_mfma_f32_16x16x128_f8f6f4 v[172:175], a[24:31], v[128:135], 0// 0000000077B4: D3AD00AC 0A030118
	v_mul_f32_dpp v46, v19, v28 row_newbcast:0 row_mask:0xf bank_mask:0xf// 0000000077BC: 0A5C38FA FF015013
	v_mov_b32_e32 v47, v46                                     // 0000000077C4: 7E5E032E
	v_pk_mul_f32 v[160:161], v[46:47], v[160:161]              // 0000000077C8: D3B140A0 1803412E
	v_pk_mul_f32 v[162:163], v[46:47], v[162:163]              // 0000000077D0: D3B140A2 1803452E
	v_pk_mul_f32 v[164:165], v[46:47], v[164:165]              // 0000000077D8: D3B140A4 1803492E
	v_pk_mul_f32 v[166:167], v[46:47], v[166:167]              // 0000000077E0: D3B140A6 18034D2E
	v_mul_f32_dpp v46, v19, v28 row_newbcast:1 row_mask:0xf bank_mask:0xf// 0000000077E8: 0A5C38FA FF015113
	v_mov_b32_e32 v47, v46                                     // 0000000077F0: 7E5E032E
	v_pk_mul_f32 v[168:169], v[46:47], v[168:169]              // 0000000077F4: D3B140A8 1803512E
	v_pk_mul_f32 v[170:171], v[46:47], v[170:171]              // 0000000077FC: D3B140AA 1803552E
	v_pk_mul_f32 v[172:173], v[46:47], v[172:173]              // 000000007804: D3B140AC 1803592E
	v_pk_mul_f32 v[174:175], v[46:47], v[174:175]              // 00000000780C: D3B140AE 18035D2E
	s_waitcnt vmcnt(29)                                        // 000000007814: BF8C4F7D
	v_mfma_f32_16x16x128_f8f6f4 v[144:147], a[32:39], v[136:143], 0// 000000007818: D3AD0090 0A031120
	buffer_load_dwordx4 a[160:163], v37, s[12:15], 0 offen     // 000000007820: E05C1000 8083A025
	buffer_load_dwordx4 a[164:167], v37, s[12:15], 0 offen offset:1024// 000000007828: E05C1400 8083A425
	buffer_load_dwordx4 a[168:171], v38, s[12:15], 0 offen     // 000000007830: E05C1000 8083A826
	buffer_load_dwordx4 a[172:175], v38, s[12:15], 0 offen offset:1024// 000000007838: E05C1400 8083AC26
	v_mfma_f32_16x16x128_f8f6f4 v[148:151], a[40:47], v[136:143], 0// 000000007840: D3AD0094 0A031128
	ds_write_b64 v4, v[176:177] offset:29184                   // 000000007848: D89A7200 0000B004
	ds_write_b64 v4, v[178:179] offset:31360                   // 000000007850: D89A7A80 0000B204
	ds_write_b64 v4, v[180:181] offset:33536                   // 000000007858: D89A8300 0000B404
	ds_write_b64 v4, v[182:183] offset:35712                   // 000000007860: D89A8B80 0000B604
	s_waitcnt vmcnt(29)                                        // 000000007868: BF8C4F7D
	v_mfma_f32_16x16x128_f8f6f4 v[152:155], a[48:55], v[136:143], 0// 00000000786C: D3AD0098 0A031130
	buffer_load_dwordx4 a[176:179], v39, s[12:15], 0 offen     // 000000007874: E05C1000 8083B027
	buffer_load_dwordx4 a[180:183], v39, s[12:15], 0 offen offset:1024// 00000000787C: E05C1400 8083B427
	buffer_load_dwordx4 a[184:187], v40, s[12:15], 0 offen     // 000000007884: E05C1000 8083B828
	buffer_load_dwordx4 a[188:191], v40, s[12:15], 0 offen offset:1024// 00000000788C: E05C1400 8083BC28
	v_mfma_f32_16x16x128_f8f6f4 v[156:159], a[56:63], v[136:143], 0// 000000007894: D3AD009C 0A031138
	v_mul_f32_dpp v46, v19, v29 row_newbcast:2 row_mask:0xf bank_mask:0xf// 00000000789C: 0A5C3AFA FF015213
	v_mov_b32_e32 v47, v46                                     // 0000000078A4: 7E5E032E
	v_pk_fma_f32 v[160:161], v[144:145], v[46:47], v[160:161]  // 0000000078A8: D3B040A0 1E825D90
	v_pk_fma_f32 v[162:163], v[146:147], v[46:47], v[162:163]  // 0000000078B0: D3B040A2 1E8A5D92
	v_pk_fma_f32 v[164:165], v[148:149], v[46:47], v[164:165]  // 0000000078B8: D3B040A4 1E925D94
	v_pk_fma_f32 v[166:167], v[150:151], v[46:47], v[166:167]  // 0000000078C0: D3B040A6 1E9A5D96
	v_mul_f32_dpp v46, v19, v29 row_newbcast:3 row_mask:0xf bank_mask:0xf// 0000000078C8: 0A5C3AFA FF015313
	v_mov_b32_e32 v47, v46                                     // 0000000078D0: 7E5E032E
	v_pk_fma_f32 v[168:169], v[152:153], v[46:47], v[168:169]  // 0000000078D4: D3B040A8 1EA25D98
	v_pk_fma_f32 v[170:171], v[154:155], v[46:47], v[170:171]  // 0000000078DC: D3B040AA 1EAA5D9A
	v_pk_fma_f32 v[172:173], v[156:157], v[46:47], v[172:173]  // 0000000078E4: D3B040AC 1EB25D9C
	v_pk_fma_f32 v[174:175], v[158:159], v[46:47], v[174:175]  // 0000000078EC: D3B040AE 1EBA5D9E
	s_add_u32 s60, 0x300, s80                                  // 0000000078F4: 803C50FF 00000300
	s_cmp_lt_u32 s60, s81                                      // 0000000078FC: BF0A513C
	s_cselect_b32 s56, s56, 0                                  // 000000007900: 85388038
	s_cselect_b32 s78, s78, 0                                  // 000000007904: 854E804E
	s_cselect_b32 s79, s79, 0                                  // 000000007908: 854F804F
	s_add_u32 s12, s56, s12                                    // 00000000790C: 800C0C38
	s_addc_u32 s13, 0, s13                                     // 000000007910: 820D0D80
	s_add_u32 s16, s79, s16                                    // 000000007914: 8010104F
	s_addc_u32 s17, 0, s17                                     // 000000007918: 82111180
	v_mov_b32_e32 v46, v23                                     // 00000000791C: 7E5C0317
	v_mov_b32_e32 v47, v23                                     // 000000007920: 7E5E0317
	v_pk_mul_f32 v[160:161], v[46:47], v[160:161]              // 000000007924: D3B140A0 1803412E
	v_pk_mul_f32 v[162:163], v[46:47], v[162:163]              // 00000000792C: D3B140A2 1803452E
	v_pk_mul_f32 v[164:165], v[46:47], v[164:165]              // 000000007934: D3B140A4 1803492E
	v_pk_mul_f32 v[166:167], v[46:47], v[166:167]              // 00000000793C: D3B140A6 18034D2E
	v_pk_mul_f32 v[168:169], v[46:47], v[168:169]              // 000000007944: D3B140A8 1803512E
	v_pk_mul_f32 v[170:171], v[46:47], v[170:171]              // 00000000794C: D3B140AA 1803552E
	v_pk_mul_f32 v[172:173], v[46:47], v[172:173]              // 000000007954: D3B140AC 1803592E
	v_pk_mul_f32 v[174:175], v[46:47], v[174:175]              // 00000000795C: D3B140AE 18035D2E
	v_cvt_pk_bf16_f32 v160, v160, v161                         // 000000007964: D26800A0 000343A0
	v_cvt_pk_bf16_f32 v161, v162, v163                         // 00000000796C: D26800A1 000347A2
	v_cvt_pk_bf16_f32 v162, v164, v165                         // 000000007974: D26800A2 00034BA4
	v_cvt_pk_bf16_f32 v163, v166, v167                         // 00000000797C: D26800A3 00034FA6
	v_cvt_pk_bf16_f32 v164, v168, v169                         // 000000007984: D26800A4 000353A8
	v_cvt_pk_bf16_f32 v165, v170, v171                         // 00000000798C: D26800A5 000357AA
	v_cvt_pk_bf16_f32 v166, v172, v173                         // 000000007994: D26800A6 00035BAC
	v_cvt_pk_bf16_f32 v167, v174, v175                         // 00000000799C: D26800A7 00035FAE
	s_cmp_ge_u32 s80, 0x200                                    // 0000000079A4: BF09FF50 00000200
	s_cselect_b32 s59, 0x200, s59                              // 0000000079AC: 853B3BFF 00000200
	s_waitcnt lgkmcnt(0)                                       // 0000000079B4: BF8CC07F
	s_barrier                                                  // 0000000079B8: BF8A0000
	s_setvskip s20, 0                                          // 0000000079BC: BF108014
	global_atomic_pk_add_bf16 v80, v64, s[8:9]                 // 0000000079C0: DD488000 00084050
	s_setvskip 0, 0                                            // 0000000079C8: BF108080
	s_setvskip s20, 0                                          // 0000000079CC: BF108014
	global_atomic_pk_add_bf16 v80, v65, s[8:9] offset:256      // 0000000079D0: DD488100 00084150
	s_setvskip 0, 0                                            // 0000000079D8: BF108080
	s_setvskip s20, 1                                          // 0000000079DC: BF108114
	global_atomic_pk_add_bf16 v82, v66, s[8:9]                 // 0000000079E0: DD488000 00084252
	s_setvskip 0, 0                                            // 0000000079E8: BF108080
	s_setvskip s20, 1                                          // 0000000079EC: BF108114
	global_atomic_pk_add_bf16 v82, v67, s[8:9] offset:256      // 0000000079F0: DD488100 00084352
	s_setvskip 0, 0                                            // 0000000079F8: BF108080
	s_setvskip s20, 2                                          // 0000000079FC: BF108214
	global_atomic_pk_add_bf16 v84, v68, s[8:9]                 // 000000007A00: DD488000 00084454
	s_setvskip 0, 0                                            // 000000007A08: BF108080
	s_setvskip s20, 2                                          // 000000007A0C: BF108214
	global_atomic_pk_add_bf16 v84, v69, s[8:9] offset:256      // 000000007A10: DD488100 00084554
	s_setvskip 0, 0                                            // 000000007A18: BF108080
	s_setvskip s20, 3                                          // 000000007A1C: BF108314
	global_atomic_pk_add_bf16 v86, v70, s[8:9]                 // 000000007A20: DD488000 00084656
	s_setvskip 0, 0                                            // 000000007A28: BF108080
	s_setvskip s20, 3                                          // 000000007A2C: BF108314
	global_atomic_pk_add_bf16 v86, v71, s[8:9] offset:256      // 000000007A30: DD488100 00084756
	s_setvskip 0, 0                                            // 000000007A38: BF108080
	s_add_u32 s8, s59, s8                                      // 000000007A3C: 8008083B
	s_addc_u32 s9, 0, s9                                       // 000000007A40: 82090980
	s_addk_i32 s80, 0x100                                      // 000000007A44: B7500100
	s_cmp_lt_i32 s80, s81                                      // 000000007A48: BF045150
	s_cbranch_scc0 label_0D35                                  // 000000007A4C: BF84FA21
	s_waitcnt vmcnt(29) lgkmcnt(0)                             // 000000007A50: BF8C407D
	s_barrier                                                  // 000000007A54: BF8A0000
	v_mfma_f32_16x16x128_f8f6f4 v[176:179], a[64:71], v[128:135], 0// 000000007A58: D3AD00B0 0A030140
	buffer_load_dword v19, v6, s[16:19], 0 offen               // 000000007A60: E0501000 80041306
	buffer_load_dwordx4 a[0:3], v37, s[12:15], 0 offen         // 000000007A68: E05C1000 80830025
	buffer_load_dwordx4 a[4:7], v37, s[12:15], 0 offen offset:1024// 000000007A70: E05C1400 80830425
	buffer_load_dwordx4 a[8:11], v38, s[12:15], 0 offen        // 000000007A78: E05C1000 80830826
	buffer_load_dwordx4 a[12:15], v38, s[12:15], 0 offen offset:1024// 000000007A80: E05C1400 80830C26
	v_mfma_f32_16x16x128_f8f6f4 v[180:183], a[72:79], v[128:135], 0// 000000007A88: D3AD00B4 0A030148
	ds_read_b32 v64, v5 offset:29184                           // 000000007A90: D86C7200 40000005
	ds_read_b32 v65, v5 offset:33536                           // 000000007A98: D86C8300 41000005
	ds_read_b32 v66, v5 offset:29192                           // 000000007AA0: D86C7208 42000005
	ds_read_b32 v67, v5 offset:33544                           // 000000007AA8: D86C8308 43000005
	ds_read_b32 v68, v5 offset:29216                           // 000000007AB0: D86C7220 44000005
	ds_read_b32 v69, v5 offset:33568                           // 000000007AB8: D86C8320 45000005
	ds_read_b32 v70, v5 offset:29224                           // 000000007AC0: D86C7228 46000005
	ds_read_b32 v71, v5 offset:33576                           // 000000007AC8: D86C8328 47000005
	s_waitcnt vmcnt(29)                                        // 000000007AD0: BF8C4F7D
	v_mfma_f32_16x16x128_f8f6f4 v[184:187], a[80:87], v[128:135], 0// 000000007AD4: D3AD00B8 0A030150
	buffer_load_dwordx4 a[16:19], v39, s[12:15], 0 offen       // 000000007ADC: E05C1000 80831027
	buffer_load_dwordx4 a[20:23], v39, s[12:15], 0 offen offset:1024// 000000007AE4: E05C1400 80831427
	buffer_load_dwordx4 a[24:27], v40, s[12:15], 0 offen       // 000000007AEC: E05C1000 80831828
	buffer_load_dwordx4 a[28:31], v40, s[12:15], 0 offen offset:1024// 000000007AF4: E05C1400 80831C28
	s_add_u32 s12, s78, s12                                    // 000000007AFC: 800C0C4E
	s_addc_u32 s13, 0, s13                                     // 000000007B00: 820D0D80
	v_mfma_f32_16x16x128_f8f6f4 v[188:191], a[88:95], v[128:135], 0// 000000007B04: D3AD00BC 0A030158
	v_mul_f32_dpp v46, v20, v28 row_newbcast:0 row_mask:0xf bank_mask:0xf// 000000007B0C: 0A5C38FA FF015014
	v_mov_b32_e32 v47, v46                                     // 000000007B14: 7E5E032E
	v_pk_mul_f32 v[176:177], v[46:47], v[176:177]              // 000000007B18: D3B140B0 1803612E
	v_pk_mul_f32 v[178:179], v[46:47], v[178:179]              // 000000007B20: D3B140B2 1803652E
	v_pk_mul_f32 v[180:181], v[46:47], v[180:181]              // 000000007B28: D3B140B4 1803692E
	v_pk_mul_f32 v[182:183], v[46:47], v[182:183]              // 000000007B30: D3B140B6 18036D2E
	v_mul_f32_dpp v46, v20, v28 row_newbcast:1 row_mask:0xf bank_mask:0xf// 000000007B38: 0A5C38FA FF015114
	v_mov_b32_e32 v47, v46                                     // 000000007B40: 7E5E032E
	v_pk_mul_f32 v[184:185], v[46:47], v[184:185]              // 000000007B44: D3B140B8 1803712E
	v_pk_mul_f32 v[186:187], v[46:47], v[186:187]              // 000000007B4C: D3B140BA 1803752E
	v_pk_mul_f32 v[188:189], v[46:47], v[188:189]              // 000000007B54: D3B140BC 1803792E
	v_pk_mul_f32 v[190:191], v[46:47], v[190:191]              // 000000007B5C: D3B140BE 18037D2E
	s_waitcnt vmcnt(29)                                        // 000000007B64: BF8C4F7D
	v_mfma_f32_16x16x128_f8f6f4 v[144:147], a[96:103], v[136:143], 0// 000000007B68: D3AD0090 0A031160
	buffer_load_dwordx4 a[32:35], v37, s[12:15], 0 offen       // 000000007B70: E05C1000 80832025
	buffer_load_dwordx4 a[36:39], v37, s[12:15], 0 offen offset:1024// 000000007B78: E05C1400 80832425
	buffer_load_dwordx4 a[40:43], v38, s[12:15], 0 offen       // 000000007B80: E05C1000 80832826
	buffer_load_dwordx4 a[44:47], v38, s[12:15], 0 offen offset:1024// 000000007B88: E05C1400 80832C26
	v_mfma_f32_16x16x128_f8f6f4 v[148:151], a[104:111], v[136:143], 0// 000000007B90: D3AD0094 0A031168
	ds_write_b64 v4, v[160:161] offset:11776                   // 000000007B98: D89A2E00 0000A004
	ds_write_b64 v4, v[162:163] offset:13952                   // 000000007BA0: D89A3680 0000A204
	ds_write_b64 v4, v[164:165] offset:16128                   // 000000007BA8: D89A3F00 0000A404
	ds_write_b64 v4, v[166:167] offset:18304                   // 000000007BB0: D89A4780 0000A604
	s_waitcnt vmcnt(29)                                        // 000000007BB8: BF8C4F7D
	v_mfma_f32_16x16x128_f8f6f4 v[152:155], a[112:119], v[136:143], 0// 000000007BBC: D3AD0098 0A031170
	buffer_load_dwordx4 a[48:51], v39, s[12:15], 0 offen       // 000000007BC4: E05C1000 80833027
	buffer_load_dwordx4 a[52:55], v39, s[12:15], 0 offen offset:1024// 000000007BCC: E05C1400 80833427
	buffer_load_dwordx4 a[56:59], v40, s[12:15], 0 offen       // 000000007BD4: E05C1000 80833828
	buffer_load_dwordx4 a[60:63], v40, s[12:15], 0 offen offset:1024// 000000007BDC: E05C1400 80833C28
	v_mfma_f32_16x16x128_f8f6f4 v[156:159], a[120:127], v[136:143], 0// 000000007BE4: D3AD009C 0A031178
	v_mul_f32_dpp v46, v20, v29 row_newbcast:2 row_mask:0xf bank_mask:0xf// 000000007BEC: 0A5C3AFA FF015214
	v_mov_b32_e32 v47, v46                                     // 000000007BF4: 7E5E032E
	v_pk_fma_f32 v[176:177], v[144:145], v[46:47], v[176:177]  // 000000007BF8: D3B040B0 1EC25D90
	v_pk_fma_f32 v[178:179], v[146:147], v[46:47], v[178:179]  // 000000007C00: D3B040B2 1ECA5D92
	v_pk_fma_f32 v[180:181], v[148:149], v[46:47], v[180:181]  // 000000007C08: D3B040B4 1ED25D94
	v_pk_fma_f32 v[182:183], v[150:151], v[46:47], v[182:183]  // 000000007C10: D3B040B6 1EDA5D96
	v_mul_f32_dpp v46, v20, v29 row_newbcast:3 row_mask:0xf bank_mask:0xf// 000000007C18: 0A5C3AFA FF015314
	v_mov_b32_e32 v47, v46                                     // 000000007C20: 7E5E032E
	v_pk_fma_f32 v[184:185], v[152:153], v[46:47], v[184:185]  // 000000007C24: D3B040B8 1EE25D98
	v_pk_fma_f32 v[186:187], v[154:155], v[46:47], v[186:187]  // 000000007C2C: D3B040BA 1EEA5D9A
	v_pk_fma_f32 v[188:189], v[156:157], v[46:47], v[188:189]  // 000000007C34: D3B040BC 1EF25D9C
	v_pk_fma_f32 v[190:191], v[158:159], v[46:47], v[190:191]  // 000000007C3C: D3B040BE 1EFA5D9E
	s_add_u32 s60, 0x300, s80                                  // 000000007C44: 803C50FF 00000300
	s_cmp_lt_u32 s60, s81                                      // 000000007C4C: BF0A513C
	s_cselect_b32 s56, s56, 0                                  // 000000007C50: 85388038
	s_cselect_b32 s78, s78, 0                                  // 000000007C54: 854E804E
	s_cselect_b32 s79, s79, 0                                  // 000000007C58: 854F804F
	s_add_u32 s12, s56, s12                                    // 000000007C5C: 800C0C38
	s_addc_u32 s13, 0, s13                                     // 000000007C60: 820D0D80
	s_add_u32 s16, s79, s16                                    // 000000007C64: 8010104F
	s_addc_u32 s17, 0, s17                                     // 000000007C68: 82111180
	v_mov_b32_e32 v46, v23                                     // 000000007C6C: 7E5C0317
	v_mov_b32_e32 v47, v23                                     // 000000007C70: 7E5E0317
	v_pk_mul_f32 v[176:177], v[46:47], v[176:177]              // 000000007C74: D3B140B0 1803612E
	v_pk_mul_f32 v[178:179], v[46:47], v[178:179]              // 000000007C7C: D3B140B2 1803652E
	v_pk_mul_f32 v[180:181], v[46:47], v[180:181]              // 000000007C84: D3B140B4 1803692E
	v_pk_mul_f32 v[182:183], v[46:47], v[182:183]              // 000000007C8C: D3B140B6 18036D2E
	v_pk_mul_f32 v[184:185], v[46:47], v[184:185]              // 000000007C94: D3B140B8 1803712E
	v_pk_mul_f32 v[186:187], v[46:47], v[186:187]              // 000000007C9C: D3B140BA 1803752E
	v_pk_mul_f32 v[188:189], v[46:47], v[188:189]              // 000000007CA4: D3B140BC 1803792E
	v_pk_mul_f32 v[190:191], v[46:47], v[190:191]              // 000000007CAC: D3B140BE 18037D2E
	v_cvt_pk_bf16_f32 v176, v176, v177                         // 000000007CB4: D26800B0 000363B0
	v_cvt_pk_bf16_f32 v177, v178, v179                         // 000000007CBC: D26800B1 000367B2
	v_cvt_pk_bf16_f32 v178, v180, v181                         // 000000007CC4: D26800B2 00036BB4
	v_cvt_pk_bf16_f32 v179, v182, v183                         // 000000007CCC: D26800B3 00036FB6
	v_cvt_pk_bf16_f32 v180, v184, v185                         // 000000007CD4: D26800B4 000373B8
	v_cvt_pk_bf16_f32 v181, v186, v187                         // 000000007CDC: D26800B5 000377BA
	v_cvt_pk_bf16_f32 v182, v188, v189                         // 000000007CE4: D26800B6 00037BBC
	v_cvt_pk_bf16_f32 v183, v190, v191                         // 000000007CEC: D26800B7 00037FBE
	s_cmp_ge_u32 s80, 0x200                                    // 000000007CF4: BF09FF50 00000200
	s_cselect_b32 s59, 0x200, s59                              // 000000007CFC: 853B3BFF 00000200
	s_waitcnt lgkmcnt(0)                                       // 000000007D04: BF8CC07F
	s_barrier                                                  // 000000007D08: BF8A0000
	s_setvskip s20, 0                                          // 000000007D0C: BF108014
	global_atomic_pk_add_bf16 v80, v64, s[8:9]                 // 000000007D10: DD488000 00084050
	s_setvskip 0, 0                                            // 000000007D18: BF108080
	s_setvskip s20, 0                                          // 000000007D1C: BF108014
	global_atomic_pk_add_bf16 v80, v65, s[8:9] offset:256      // 000000007D20: DD488100 00084150
	s_setvskip 0, 0                                            // 000000007D28: BF108080
	s_setvskip s20, 1                                          // 000000007D2C: BF108114
	global_atomic_pk_add_bf16 v82, v66, s[8:9]                 // 000000007D30: DD488000 00084252
	s_setvskip 0, 0                                            // 000000007D38: BF108080
	s_setvskip s20, 1                                          // 000000007D3C: BF108114
	global_atomic_pk_add_bf16 v82, v67, s[8:9] offset:256      // 000000007D40: DD488100 00084352
	s_setvskip 0, 0                                            // 000000007D48: BF108080
	s_setvskip s20, 2                                          // 000000007D4C: BF108214
	global_atomic_pk_add_bf16 v84, v68, s[8:9]                 // 000000007D50: DD488000 00084454
	s_setvskip 0, 0                                            // 000000007D58: BF108080
	s_setvskip s20, 2                                          // 000000007D5C: BF108214
	global_atomic_pk_add_bf16 v84, v69, s[8:9] offset:256      // 000000007D60: DD488100 00084554
	s_setvskip 0, 0                                            // 000000007D68: BF108080
	s_setvskip s20, 3                                          // 000000007D6C: BF108314
	global_atomic_pk_add_bf16 v86, v70, s[8:9]                 // 000000007D70: DD488000 00084656
	s_setvskip 0, 0                                            // 000000007D78: BF108080
	s_setvskip s20, 3                                          // 000000007D7C: BF108314
	global_atomic_pk_add_bf16 v86, v71, s[8:9] offset:256      // 000000007D80: DD488100 00084756
	s_setvskip 0, 0                                            // 000000007D88: BF108080
	s_add_u32 s8, s59, s8                                      // 000000007D8C: 8008083B
	s_addc_u32 s9, 0, s9                                       // 000000007D90: 82090980
	s_addk_i32 s80, 0x100                                      // 000000007D94: B7500100
	s_cmp_lt_i32 s80, s81                                      // 000000007D98: BF045150
	s_cbranch_scc0 label_0D35                                  // 000000007D9C: BF84F94D
	s_waitcnt vmcnt(29) lgkmcnt(0)                             // 000000007DA0: BF8C407D
	s_barrier                                                  // 000000007DA4: BF8A0000
	v_mfma_f32_16x16x128_f8f6f4 v[160:163], a[128:135], v[128:135], 0// 000000007DA8: D3AD00A0 0A030180
	buffer_load_dword v20, v6, s[16:19], 0 offen               // 000000007DB0: E0501000 80041406
	buffer_load_dwordx4 a[64:67], v37, s[12:15], 0 offen       // 000000007DB8: E05C1000 80834025
	buffer_load_dwordx4 a[68:71], v37, s[12:15], 0 offen offset:1024// 000000007DC0: E05C1400 80834425
	buffer_load_dwordx4 a[72:75], v38, s[12:15], 0 offen       // 000000007DC8: E05C1000 80834826
	buffer_load_dwordx4 a[76:79], v38, s[12:15], 0 offen offset:1024// 000000007DD0: E05C1400 80834C26
	v_mfma_f32_16x16x128_f8f6f4 v[164:167], a[136:143], v[128:135], 0// 000000007DD8: D3AD00A4 0A030188
	ds_read_b32 v64, v5 offset:11776                           // 000000007DE0: D86C2E00 40000005
	ds_read_b32 v65, v5 offset:16128                           // 000000007DE8: D86C3F00 41000005
	ds_read_b32 v66, v5 offset:11784                           // 000000007DF0: D86C2E08 42000005
	ds_read_b32 v67, v5 offset:16136                           // 000000007DF8: D86C3F08 43000005
	ds_read_b32 v68, v5 offset:11808                           // 000000007E00: D86C2E20 44000005
	ds_read_b32 v69, v5 offset:16160                           // 000000007E08: D86C3F20 45000005
	ds_read_b32 v70, v5 offset:11816                           // 000000007E10: D86C2E28 46000005
	ds_read_b32 v71, v5 offset:16168                           // 000000007E18: D86C3F28 47000005
	s_waitcnt vmcnt(29)                                        // 000000007E20: BF8C4F7D
	v_mfma_f32_16x16x128_f8f6f4 v[168:171], a[144:151], v[128:135], 0// 000000007E24: D3AD00A8 0A030190
	buffer_load_dwordx4 a[80:83], v39, s[12:15], 0 offen       // 000000007E2C: E05C1000 80835027
	buffer_load_dwordx4 a[84:87], v39, s[12:15], 0 offen offset:1024// 000000007E34: E05C1400 80835427
	buffer_load_dwordx4 a[88:91], v40, s[12:15], 0 offen       // 000000007E3C: E05C1000 80835828
	buffer_load_dwordx4 a[92:95], v40, s[12:15], 0 offen offset:1024// 000000007E44: E05C1400 80835C28
	s_add_u32 s12, s78, s12                                    // 000000007E4C: 800C0C4E
	s_addc_u32 s13, 0, s13                                     // 000000007E50: 820D0D80
	v_mfma_f32_16x16x128_f8f6f4 v[172:175], a[152:159], v[128:135], 0// 000000007E54: D3AD00AC 0A030198
	v_mul_f32_dpp v46, v21, v28 row_newbcast:0 row_mask:0xf bank_mask:0xf// 000000007E5C: 0A5C38FA FF015015
	v_mov_b32_e32 v47, v46                                     // 000000007E64: 7E5E032E
	v_pk_mul_f32 v[160:161], v[46:47], v[160:161]              // 000000007E68: D3B140A0 1803412E
	v_pk_mul_f32 v[162:163], v[46:47], v[162:163]              // 000000007E70: D3B140A2 1803452E
	v_pk_mul_f32 v[164:165], v[46:47], v[164:165]              // 000000007E78: D3B140A4 1803492E
	v_pk_mul_f32 v[166:167], v[46:47], v[166:167]              // 000000007E80: D3B140A6 18034D2E
	v_mul_f32_dpp v46, v21, v28 row_newbcast:1 row_mask:0xf bank_mask:0xf// 000000007E88: 0A5C38FA FF015115
	v_mov_b32_e32 v47, v46                                     // 000000007E90: 7E5E032E
	v_pk_mul_f32 v[168:169], v[46:47], v[168:169]              // 000000007E94: D3B140A8 1803512E
	v_pk_mul_f32 v[170:171], v[46:47], v[170:171]              // 000000007E9C: D3B140AA 1803552E
	v_pk_mul_f32 v[172:173], v[46:47], v[172:173]              // 000000007EA4: D3B140AC 1803592E
	v_pk_mul_f32 v[174:175], v[46:47], v[174:175]              // 000000007EAC: D3B140AE 18035D2E
	s_waitcnt vmcnt(29)                                        // 000000007EB4: BF8C4F7D
	v_mfma_f32_16x16x128_f8f6f4 v[144:147], a[160:167], v[136:143], 0// 000000007EB8: D3AD0090 0A0311A0
	buffer_load_dwordx4 a[96:99], v37, s[12:15], 0 offen       // 000000007EC0: E05C1000 80836025
	buffer_load_dwordx4 a[100:103], v37, s[12:15], 0 offen offset:1024// 000000007EC8: E05C1400 80836425
	buffer_load_dwordx4 a[104:107], v38, s[12:15], 0 offen     // 000000007ED0: E05C1000 80836826
	buffer_load_dwordx4 a[108:111], v38, s[12:15], 0 offen offset:1024// 000000007ED8: E05C1400 80836C26
	v_mfma_f32_16x16x128_f8f6f4 v[148:151], a[168:175], v[136:143], 0// 000000007EE0: D3AD0094 0A0311A8
	ds_write_b64 v4, v[176:177] offset:29184                   // 000000007EE8: D89A7200 0000B004
	ds_write_b64 v4, v[178:179] offset:31360                   // 000000007EF0: D89A7A80 0000B204
	ds_write_b64 v4, v[180:181] offset:33536                   // 000000007EF8: D89A8300 0000B404
	ds_write_b64 v4, v[182:183] offset:35712                   // 000000007F00: D89A8B80 0000B604
	s_waitcnt vmcnt(29)                                        // 000000007F08: BF8C4F7D
	v_mfma_f32_16x16x128_f8f6f4 v[152:155], a[176:183], v[136:143], 0// 000000007F0C: D3AD0098 0A0311B0
	buffer_load_dwordx4 a[112:115], v39, s[12:15], 0 offen     // 000000007F14: E05C1000 80837027
	buffer_load_dwordx4 a[116:119], v39, s[12:15], 0 offen offset:1024// 000000007F1C: E05C1400 80837427
	buffer_load_dwordx4 a[120:123], v40, s[12:15], 0 offen     // 000000007F24: E05C1000 80837828
	buffer_load_dwordx4 a[124:127], v40, s[12:15], 0 offen offset:1024// 000000007F2C: E05C1400 80837C28
	v_mfma_f32_16x16x128_f8f6f4 v[156:159], a[184:191], v[136:143], 0// 000000007F34: D3AD009C 0A0311B8
	v_mul_f32_dpp v46, v21, v29 row_newbcast:2 row_mask:0xf bank_mask:0xf// 000000007F3C: 0A5C3AFA FF015215
	v_mov_b32_e32 v47, v46                                     // 000000007F44: 7E5E032E
	v_pk_fma_f32 v[160:161], v[144:145], v[46:47], v[160:161]  // 000000007F48: D3B040A0 1E825D90
	v_pk_fma_f32 v[162:163], v[146:147], v[46:47], v[162:163]  // 000000007F50: D3B040A2 1E8A5D92
	v_pk_fma_f32 v[164:165], v[148:149], v[46:47], v[164:165]  // 000000007F58: D3B040A4 1E925D94
	v_pk_fma_f32 v[166:167], v[150:151], v[46:47], v[166:167]  // 000000007F60: D3B040A6 1E9A5D96
	v_mul_f32_dpp v46, v21, v29 row_newbcast:3 row_mask:0xf bank_mask:0xf// 000000007F68: 0A5C3AFA FF015315
	v_mov_b32_e32 v47, v46                                     // 000000007F70: 7E5E032E
	v_pk_fma_f32 v[168:169], v[152:153], v[46:47], v[168:169]  // 000000007F74: D3B040A8 1EA25D98
	v_pk_fma_f32 v[170:171], v[154:155], v[46:47], v[170:171]  // 000000007F7C: D3B040AA 1EAA5D9A
	v_pk_fma_f32 v[172:173], v[156:157], v[46:47], v[172:173]  // 000000007F84: D3B040AC 1EB25D9C
	v_pk_fma_f32 v[174:175], v[158:159], v[46:47], v[174:175]  // 000000007F8C: D3B040AE 1EBA5D9E
	s_add_u32 s60, 0x300, s80                                  // 000000007F94: 803C50FF 00000300
	s_cmp_lt_u32 s60, s81                                      // 000000007F9C: BF0A513C
	s_cselect_b32 s56, s56, 0                                  // 000000007FA0: 85388038
	s_cselect_b32 s78, s78, 0                                  // 000000007FA4: 854E804E
	s_cselect_b32 s79, s79, 0                                  // 000000007FA8: 854F804F
	s_add_u32 s12, s56, s12                                    // 000000007FAC: 800C0C38
	s_addc_u32 s13, 0, s13                                     // 000000007FB0: 820D0D80
	s_add_u32 s16, s79, s16                                    // 000000007FB4: 8010104F
	s_addc_u32 s17, 0, s17                                     // 000000007FB8: 82111180
	v_mov_b32_e32 v46, v23                                     // 000000007FBC: 7E5C0317
	v_mov_b32_e32 v47, v23                                     // 000000007FC0: 7E5E0317
	v_pk_mul_f32 v[160:161], v[46:47], v[160:161]              // 000000007FC4: D3B140A0 1803412E
	v_pk_mul_f32 v[162:163], v[46:47], v[162:163]              // 000000007FCC: D3B140A2 1803452E
	v_pk_mul_f32 v[164:165], v[46:47], v[164:165]              // 000000007FD4: D3B140A4 1803492E
	v_pk_mul_f32 v[166:167], v[46:47], v[166:167]              // 000000007FDC: D3B140A6 18034D2E
	v_pk_mul_f32 v[168:169], v[46:47], v[168:169]              // 000000007FE4: D3B140A8 1803512E
	v_pk_mul_f32 v[170:171], v[46:47], v[170:171]              // 000000007FEC: D3B140AA 1803552E
	v_pk_mul_f32 v[172:173], v[46:47], v[172:173]              // 000000007FF4: D3B140AC 1803592E
	v_pk_mul_f32 v[174:175], v[46:47], v[174:175]              // 000000007FFC: D3B140AE 18035D2E
	v_cvt_pk_bf16_f32 v160, v160, v161                         // 000000008004: D26800A0 000343A0
	v_cvt_pk_bf16_f32 v161, v162, v163                         // 00000000800C: D26800A1 000347A2
	v_cvt_pk_bf16_f32 v162, v164, v165                         // 000000008014: D26800A2 00034BA4
	v_cvt_pk_bf16_f32 v163, v166, v167                         // 00000000801C: D26800A3 00034FA6
	v_cvt_pk_bf16_f32 v164, v168, v169                         // 000000008024: D26800A4 000353A8
	v_cvt_pk_bf16_f32 v165, v170, v171                         // 00000000802C: D26800A5 000357AA
	v_cvt_pk_bf16_f32 v166, v172, v173                         // 000000008034: D26800A6 00035BAC
	v_cvt_pk_bf16_f32 v167, v174, v175                         // 00000000803C: D26800A7 00035FAE
	s_cmp_ge_u32 s80, 0x200                                    // 000000008044: BF09FF50 00000200
	s_cselect_b32 s59, 0x200, s59                              // 00000000804C: 853B3BFF 00000200
	s_waitcnt lgkmcnt(0)                                       // 000000008054: BF8CC07F
	s_barrier                                                  // 000000008058: BF8A0000
	s_setvskip s20, 0                                          // 00000000805C: BF108014
	global_atomic_pk_add_bf16 v80, v64, s[8:9]                 // 000000008060: DD488000 00084050
	s_setvskip 0, 0                                            // 000000008068: BF108080
	s_setvskip s20, 0                                          // 00000000806C: BF108014
	global_atomic_pk_add_bf16 v80, v65, s[8:9] offset:256      // 000000008070: DD488100 00084150
	s_setvskip 0, 0                                            // 000000008078: BF108080
	s_setvskip s20, 1                                          // 00000000807C: BF108114
	global_atomic_pk_add_bf16 v82, v66, s[8:9]                 // 000000008080: DD488000 00084252
	s_setvskip 0, 0                                            // 000000008088: BF108080
	s_setvskip s20, 1                                          // 00000000808C: BF108114
	global_atomic_pk_add_bf16 v82, v67, s[8:9] offset:256      // 000000008090: DD488100 00084352
	s_setvskip 0, 0                                            // 000000008098: BF108080
	s_setvskip s20, 2                                          // 00000000809C: BF108214
	global_atomic_pk_add_bf16 v84, v68, s[8:9]                 // 0000000080A0: DD488000 00084454
	s_setvskip 0, 0                                            // 0000000080A8: BF108080
	s_setvskip s20, 2                                          // 0000000080AC: BF108214
	global_atomic_pk_add_bf16 v84, v69, s[8:9] offset:256      // 0000000080B0: DD488100 00084554
	s_setvskip 0, 0                                            // 0000000080B8: BF108080
	s_setvskip s20, 3                                          // 0000000080BC: BF108314
	global_atomic_pk_add_bf16 v86, v70, s[8:9]                 // 0000000080C0: DD488000 00084656
	s_setvskip 0, 0                                            // 0000000080C8: BF108080
	s_setvskip s20, 3                                          // 0000000080CC: BF108314
	global_atomic_pk_add_bf16 v86, v71, s[8:9] offset:256      // 0000000080D0: DD488100 00084756
	s_setvskip 0, 0                                            // 0000000080D8: BF108080
	s_add_u32 s8, s59, s8                                      // 0000000080DC: 8008083B
	s_addc_u32 s9, 0, s9                                       // 0000000080E0: 82090980
	s_addk_i32 s80, 0x100                                      // 0000000080E4: B7500100
	s_cmp_lt_i32 s80, s81                                      // 0000000080E8: BF045150
	s_cbranch_scc0 label_0D35                                  // 0000000080EC: BF84F879
	s_waitcnt vmcnt(29) lgkmcnt(0)                             // 0000000080F0: BF8C407D
	s_barrier                                                  // 0000000080F4: BF8A0000
	v_mfma_f32_16x16x128_f8f6f4 v[176:179], a[0:7], v[128:135], 0// 0000000080F8: D3AD00B0 0A030100
	buffer_load_dword v21, v6, s[16:19], 0 offen               // 000000008100: E0501000 80041506
	buffer_load_dwordx4 a[128:131], v37, s[12:15], 0 offen     // 000000008108: E05C1000 80838025
	buffer_load_dwordx4 a[132:135], v37, s[12:15], 0 offen offset:1024// 000000008110: E05C1400 80838425
	buffer_load_dwordx4 a[136:139], v38, s[12:15], 0 offen     // 000000008118: E05C1000 80838826
	buffer_load_dwordx4 a[140:143], v38, s[12:15], 0 offen offset:1024// 000000008120: E05C1400 80838C26
	v_mfma_f32_16x16x128_f8f6f4 v[180:183], a[8:15], v[128:135], 0// 000000008128: D3AD00B4 0A030108
	ds_read_b32 v64, v5 offset:29184                           // 000000008130: D86C7200 40000005
	ds_read_b32 v65, v5 offset:33536                           // 000000008138: D86C8300 41000005
	ds_read_b32 v66, v5 offset:29192                           // 000000008140: D86C7208 42000005
	ds_read_b32 v67, v5 offset:33544                           // 000000008148: D86C8308 43000005
	ds_read_b32 v68, v5 offset:29216                           // 000000008150: D86C7220 44000005
	ds_read_b32 v69, v5 offset:33568                           // 000000008158: D86C8320 45000005
	ds_read_b32 v70, v5 offset:29224                           // 000000008160: D86C7228 46000005
	ds_read_b32 v71, v5 offset:33576                           // 000000008168: D86C8328 47000005
	s_waitcnt vmcnt(29)                                        // 000000008170: BF8C4F7D
	v_mfma_f32_16x16x128_f8f6f4 v[184:187], a[16:23], v[128:135], 0// 000000008174: D3AD00B8 0A030110
	buffer_load_dwordx4 a[144:147], v39, s[12:15], 0 offen     // 00000000817C: E05C1000 80839027
	buffer_load_dwordx4 a[148:151], v39, s[12:15], 0 offen offset:1024// 000000008184: E05C1400 80839427
	buffer_load_dwordx4 a[152:155], v40, s[12:15], 0 offen     // 00000000818C: E05C1000 80839828
	buffer_load_dwordx4 a[156:159], v40, s[12:15], 0 offen offset:1024// 000000008194: E05C1400 80839C28
	s_add_u32 s12, s78, s12                                    // 00000000819C: 800C0C4E
	s_addc_u32 s13, 0, s13                                     // 0000000081A0: 820D0D80
	v_mfma_f32_16x16x128_f8f6f4 v[188:191], a[24:31], v[128:135], 0// 0000000081A4: D3AD00BC 0A030118
	v_mul_f32_dpp v46, v19, v28 row_newbcast:0 row_mask:0xf bank_mask:0xf// 0000000081AC: 0A5C38FA FF015013
	v_mov_b32_e32 v47, v46                                     // 0000000081B4: 7E5E032E
	v_pk_mul_f32 v[176:177], v[46:47], v[176:177]              // 0000000081B8: D3B140B0 1803612E
	v_pk_mul_f32 v[178:179], v[46:47], v[178:179]              // 0000000081C0: D3B140B2 1803652E
	v_pk_mul_f32 v[180:181], v[46:47], v[180:181]              // 0000000081C8: D3B140B4 1803692E
	v_pk_mul_f32 v[182:183], v[46:47], v[182:183]              // 0000000081D0: D3B140B6 18036D2E
	v_mul_f32_dpp v46, v19, v28 row_newbcast:1 row_mask:0xf bank_mask:0xf// 0000000081D8: 0A5C38FA FF015113
	v_mov_b32_e32 v47, v46                                     // 0000000081E0: 7E5E032E
	v_pk_mul_f32 v[184:185], v[46:47], v[184:185]              // 0000000081E4: D3B140B8 1803712E
	v_pk_mul_f32 v[186:187], v[46:47], v[186:187]              // 0000000081EC: D3B140BA 1803752E
	v_pk_mul_f32 v[188:189], v[46:47], v[188:189]              // 0000000081F4: D3B140BC 1803792E
	v_pk_mul_f32 v[190:191], v[46:47], v[190:191]              // 0000000081FC: D3B140BE 18037D2E
	s_waitcnt vmcnt(29)                                        // 000000008204: BF8C4F7D
	v_mfma_f32_16x16x128_f8f6f4 v[144:147], a[32:39], v[136:143], 0// 000000008208: D3AD0090 0A031120
	buffer_load_dwordx4 a[160:163], v37, s[12:15], 0 offen     // 000000008210: E05C1000 8083A025
	buffer_load_dwordx4 a[164:167], v37, s[12:15], 0 offen offset:1024// 000000008218: E05C1400 8083A425
	buffer_load_dwordx4 a[168:171], v38, s[12:15], 0 offen     // 000000008220: E05C1000 8083A826
	buffer_load_dwordx4 a[172:175], v38, s[12:15], 0 offen offset:1024// 000000008228: E05C1400 8083AC26
	v_mfma_f32_16x16x128_f8f6f4 v[148:151], a[40:47], v[136:143], 0// 000000008230: D3AD0094 0A031128
	ds_write_b64 v4, v[160:161] offset:11776                   // 000000008238: D89A2E00 0000A004
	ds_write_b64 v4, v[162:163] offset:13952                   // 000000008240: D89A3680 0000A204
	ds_write_b64 v4, v[164:165] offset:16128                   // 000000008248: D89A3F00 0000A404
	ds_write_b64 v4, v[166:167] offset:18304                   // 000000008250: D89A4780 0000A604
	s_waitcnt vmcnt(29)                                        // 000000008258: BF8C4F7D
	v_mfma_f32_16x16x128_f8f6f4 v[152:155], a[48:55], v[136:143], 0// 00000000825C: D3AD0098 0A031130
	buffer_load_dwordx4 a[176:179], v39, s[12:15], 0 offen     // 000000008264: E05C1000 8083B027
	buffer_load_dwordx4 a[180:183], v39, s[12:15], 0 offen offset:1024// 00000000826C: E05C1400 8083B427
	buffer_load_dwordx4 a[184:187], v40, s[12:15], 0 offen     // 000000008274: E05C1000 8083B828
	buffer_load_dwordx4 a[188:191], v40, s[12:15], 0 offen offset:1024// 00000000827C: E05C1400 8083BC28
	v_mfma_f32_16x16x128_f8f6f4 v[156:159], a[56:63], v[136:143], 0// 000000008284: D3AD009C 0A031138
	v_mul_f32_dpp v46, v19, v29 row_newbcast:2 row_mask:0xf bank_mask:0xf// 00000000828C: 0A5C3AFA FF015213
	v_mov_b32_e32 v47, v46                                     // 000000008294: 7E5E032E
	v_pk_fma_f32 v[176:177], v[144:145], v[46:47], v[176:177]  // 000000008298: D3B040B0 1EC25D90
	v_pk_fma_f32 v[178:179], v[146:147], v[46:47], v[178:179]  // 0000000082A0: D3B040B2 1ECA5D92
	v_pk_fma_f32 v[180:181], v[148:149], v[46:47], v[180:181]  // 0000000082A8: D3B040B4 1ED25D94
	v_pk_fma_f32 v[182:183], v[150:151], v[46:47], v[182:183]  // 0000000082B0: D3B040B6 1EDA5D96
	v_mul_f32_dpp v46, v19, v29 row_newbcast:3 row_mask:0xf bank_mask:0xf// 0000000082B8: 0A5C3AFA FF015313
	v_mov_b32_e32 v47, v46                                     // 0000000082C0: 7E5E032E
	v_pk_fma_f32 v[184:185], v[152:153], v[46:47], v[184:185]  // 0000000082C4: D3B040B8 1EE25D98
	v_pk_fma_f32 v[186:187], v[154:155], v[46:47], v[186:187]  // 0000000082CC: D3B040BA 1EEA5D9A
	v_pk_fma_f32 v[188:189], v[156:157], v[46:47], v[188:189]  // 0000000082D4: D3B040BC 1EF25D9C
	v_pk_fma_f32 v[190:191], v[158:159], v[46:47], v[190:191]  // 0000000082DC: D3B040BE 1EFA5D9E
	s_add_u32 s60, 0x300, s80                                  // 0000000082E4: 803C50FF 00000300
	s_cmp_lt_u32 s60, s81                                      // 0000000082EC: BF0A513C
	s_cselect_b32 s56, s56, 0                                  // 0000000082F0: 85388038
	s_cselect_b32 s78, s78, 0                                  // 0000000082F4: 854E804E
	s_cselect_b32 s79, s79, 0                                  // 0000000082F8: 854F804F
	s_add_u32 s12, s56, s12                                    // 0000000082FC: 800C0C38
	s_addc_u32 s13, 0, s13                                     // 000000008300: 820D0D80
	s_add_u32 s16, s79, s16                                    // 000000008304: 8010104F
	s_addc_u32 s17, 0, s17                                     // 000000008308: 82111180
	v_mov_b32_e32 v46, v23                                     // 00000000830C: 7E5C0317
	v_mov_b32_e32 v47, v23                                     // 000000008310: 7E5E0317
	v_pk_mul_f32 v[176:177], v[46:47], v[176:177]              // 000000008314: D3B140B0 1803612E
	v_pk_mul_f32 v[178:179], v[46:47], v[178:179]              // 00000000831C: D3B140B2 1803652E
	v_pk_mul_f32 v[180:181], v[46:47], v[180:181]              // 000000008324: D3B140B4 1803692E
	v_pk_mul_f32 v[182:183], v[46:47], v[182:183]              // 00000000832C: D3B140B6 18036D2E
	v_pk_mul_f32 v[184:185], v[46:47], v[184:185]              // 000000008334: D3B140B8 1803712E
	v_pk_mul_f32 v[186:187], v[46:47], v[186:187]              // 00000000833C: D3B140BA 1803752E
	v_pk_mul_f32 v[188:189], v[46:47], v[188:189]              // 000000008344: D3B140BC 1803792E
	v_pk_mul_f32 v[190:191], v[46:47], v[190:191]              // 00000000834C: D3B140BE 18037D2E
	v_cvt_pk_bf16_f32 v176, v176, v177                         // 000000008354: D26800B0 000363B0
	v_cvt_pk_bf16_f32 v177, v178, v179                         // 00000000835C: D26800B1 000367B2
	v_cvt_pk_bf16_f32 v178, v180, v181                         // 000000008364: D26800B2 00036BB4
	v_cvt_pk_bf16_f32 v179, v182, v183                         // 00000000836C: D26800B3 00036FB6
	v_cvt_pk_bf16_f32 v180, v184, v185                         // 000000008374: D26800B4 000373B8
	v_cvt_pk_bf16_f32 v181, v186, v187                         // 00000000837C: D26800B5 000377BA
	v_cvt_pk_bf16_f32 v182, v188, v189                         // 000000008384: D26800B6 00037BBC
	v_cvt_pk_bf16_f32 v183, v190, v191                         // 00000000838C: D26800B7 00037FBE
	s_cmp_ge_u32 s80, 0x200                                    // 000000008394: BF09FF50 00000200
	s_cselect_b32 s59, 0x200, s59                              // 00000000839C: 853B3BFF 00000200
	s_waitcnt lgkmcnt(0)                                       // 0000000083A4: BF8CC07F
	s_barrier                                                  // 0000000083A8: BF8A0000
	s_setvskip s20, 0                                          // 0000000083AC: BF108014
	global_atomic_pk_add_bf16 v80, v64, s[8:9]                 // 0000000083B0: DD488000 00084050
	s_setvskip 0, 0                                            // 0000000083B8: BF108080
	s_setvskip s20, 0                                          // 0000000083BC: BF108014
	global_atomic_pk_add_bf16 v80, v65, s[8:9] offset:256      // 0000000083C0: DD488100 00084150
	s_setvskip 0, 0                                            // 0000000083C8: BF108080
	s_setvskip s20, 1                                          // 0000000083CC: BF108114
	global_atomic_pk_add_bf16 v82, v66, s[8:9]                 // 0000000083D0: DD488000 00084252
	s_setvskip 0, 0                                            // 0000000083D8: BF108080
	s_setvskip s20, 1                                          // 0000000083DC: BF108114
	global_atomic_pk_add_bf16 v82, v67, s[8:9] offset:256      // 0000000083E0: DD488100 00084352
	s_setvskip 0, 0                                            // 0000000083E8: BF108080
	s_setvskip s20, 2                                          // 0000000083EC: BF108214
	global_atomic_pk_add_bf16 v84, v68, s[8:9]                 // 0000000083F0: DD488000 00084454
	s_setvskip 0, 0                                            // 0000000083F8: BF108080
	s_setvskip s20, 2                                          // 0000000083FC: BF108214
	global_atomic_pk_add_bf16 v84, v69, s[8:9] offset:256      // 000000008400: DD488100 00084554
	s_setvskip 0, 0                                            // 000000008408: BF108080
	s_setvskip s20, 3                                          // 00000000840C: BF108314
	global_atomic_pk_add_bf16 v86, v70, s[8:9]                 // 000000008410: DD488000 00084656
	s_setvskip 0, 0                                            // 000000008418: BF108080
	s_setvskip s20, 3                                          // 00000000841C: BF108314
	global_atomic_pk_add_bf16 v86, v71, s[8:9] offset:256      // 000000008420: DD488100 00084756
	s_setvskip 0, 0                                            // 000000008428: BF108080
	s_add_u32 s8, s59, s8                                      // 00000000842C: 8008083B
	s_addc_u32 s9, 0, s9                                       // 000000008430: 82090980
	s_addk_i32 s80, 0x100                                      // 000000008434: B7500100
	s_cmp_lt_i32 s80, s81                                      // 000000008438: BF045150
	s_cbranch_scc0 label_0D35                                  // 00000000843C: BF84F7A5
	s_waitcnt vmcnt(29) lgkmcnt(0)                             // 000000008440: BF8C407D
	s_barrier                                                  // 000000008444: BF8A0000
	v_mfma_f32_16x16x128_f8f6f4 v[160:163], a[64:71], v[128:135], 0// 000000008448: D3AD00A0 0A030140
	buffer_load_dword v19, v6, s[16:19], 0 offen               // 000000008450: E0501000 80041306
	buffer_load_dwordx4 a[0:3], v37, s[12:15], 0 offen         // 000000008458: E05C1000 80830025
	buffer_load_dwordx4 a[4:7], v37, s[12:15], 0 offen offset:1024// 000000008460: E05C1400 80830425
	buffer_load_dwordx4 a[8:11], v38, s[12:15], 0 offen        // 000000008468: E05C1000 80830826
	buffer_load_dwordx4 a[12:15], v38, s[12:15], 0 offen offset:1024// 000000008470: E05C1400 80830C26
	v_mfma_f32_16x16x128_f8f6f4 v[164:167], a[72:79], v[128:135], 0// 000000008478: D3AD00A4 0A030148
	ds_read_b32 v64, v5 offset:11776                           // 000000008480: D86C2E00 40000005
	ds_read_b32 v65, v5 offset:16128                           // 000000008488: D86C3F00 41000005
	ds_read_b32 v66, v5 offset:11784                           // 000000008490: D86C2E08 42000005
	ds_read_b32 v67, v5 offset:16136                           // 000000008498: D86C3F08 43000005
	ds_read_b32 v68, v5 offset:11808                           // 0000000084A0: D86C2E20 44000005
	ds_read_b32 v69, v5 offset:16160                           // 0000000084A8: D86C3F20 45000005
	ds_read_b32 v70, v5 offset:11816                           // 0000000084B0: D86C2E28 46000005
	ds_read_b32 v71, v5 offset:16168                           // 0000000084B8: D86C3F28 47000005
	s_waitcnt vmcnt(29)                                        // 0000000084C0: BF8C4F7D
	v_mfma_f32_16x16x128_f8f6f4 v[168:171], a[80:87], v[128:135], 0// 0000000084C4: D3AD00A8 0A030150
	buffer_load_dwordx4 a[16:19], v39, s[12:15], 0 offen       // 0000000084CC: E05C1000 80831027
	buffer_load_dwordx4 a[20:23], v39, s[12:15], 0 offen offset:1024// 0000000084D4: E05C1400 80831427
	buffer_load_dwordx4 a[24:27], v40, s[12:15], 0 offen       // 0000000084DC: E05C1000 80831828
	buffer_load_dwordx4 a[28:31], v40, s[12:15], 0 offen offset:1024// 0000000084E4: E05C1400 80831C28
	s_add_u32 s12, s78, s12                                    // 0000000084EC: 800C0C4E
	s_addc_u32 s13, 0, s13                                     // 0000000084F0: 820D0D80
	v_mfma_f32_16x16x128_f8f6f4 v[172:175], a[88:95], v[128:135], 0// 0000000084F4: D3AD00AC 0A030158
	v_mul_f32_dpp v46, v20, v28 row_newbcast:0 row_mask:0xf bank_mask:0xf// 0000000084FC: 0A5C38FA FF015014
	v_mov_b32_e32 v47, v46                                     // 000000008504: 7E5E032E
	v_pk_mul_f32 v[160:161], v[46:47], v[160:161]              // 000000008508: D3B140A0 1803412E
	v_pk_mul_f32 v[162:163], v[46:47], v[162:163]              // 000000008510: D3B140A2 1803452E
	v_pk_mul_f32 v[164:165], v[46:47], v[164:165]              // 000000008518: D3B140A4 1803492E
	v_pk_mul_f32 v[166:167], v[46:47], v[166:167]              // 000000008520: D3B140A6 18034D2E
	v_mul_f32_dpp v46, v20, v28 row_newbcast:1 row_mask:0xf bank_mask:0xf// 000000008528: 0A5C38FA FF015114
	v_mov_b32_e32 v47, v46                                     // 000000008530: 7E5E032E
	v_pk_mul_f32 v[168:169], v[46:47], v[168:169]              // 000000008534: D3B140A8 1803512E
	v_pk_mul_f32 v[170:171], v[46:47], v[170:171]              // 00000000853C: D3B140AA 1803552E
	v_pk_mul_f32 v[172:173], v[46:47], v[172:173]              // 000000008544: D3B140AC 1803592E
	v_pk_mul_f32 v[174:175], v[46:47], v[174:175]              // 00000000854C: D3B140AE 18035D2E
	s_waitcnt vmcnt(29)                                        // 000000008554: BF8C4F7D
	v_mfma_f32_16x16x128_f8f6f4 v[144:147], a[96:103], v[136:143], 0// 000000008558: D3AD0090 0A031160
	buffer_load_dwordx4 a[32:35], v37, s[12:15], 0 offen       // 000000008560: E05C1000 80832025
	buffer_load_dwordx4 a[36:39], v37, s[12:15], 0 offen offset:1024// 000000008568: E05C1400 80832425
	buffer_load_dwordx4 a[40:43], v38, s[12:15], 0 offen       // 000000008570: E05C1000 80832826
	buffer_load_dwordx4 a[44:47], v38, s[12:15], 0 offen offset:1024// 000000008578: E05C1400 80832C26
	v_mfma_f32_16x16x128_f8f6f4 v[148:151], a[104:111], v[136:143], 0// 000000008580: D3AD0094 0A031168
	ds_write_b64 v4, v[176:177] offset:29184                   // 000000008588: D89A7200 0000B004
	ds_write_b64 v4, v[178:179] offset:31360                   // 000000008590: D89A7A80 0000B204
	ds_write_b64 v4, v[180:181] offset:33536                   // 000000008598: D89A8300 0000B404
	ds_write_b64 v4, v[182:183] offset:35712                   // 0000000085A0: D89A8B80 0000B604
	s_waitcnt vmcnt(29)                                        // 0000000085A8: BF8C4F7D
	v_mfma_f32_16x16x128_f8f6f4 v[152:155], a[112:119], v[136:143], 0// 0000000085AC: D3AD0098 0A031170
	buffer_load_dwordx4 a[48:51], v39, s[12:15], 0 offen       // 0000000085B4: E05C1000 80833027
	buffer_load_dwordx4 a[52:55], v39, s[12:15], 0 offen offset:1024// 0000000085BC: E05C1400 80833427
	buffer_load_dwordx4 a[56:59], v40, s[12:15], 0 offen       // 0000000085C4: E05C1000 80833828
	buffer_load_dwordx4 a[60:63], v40, s[12:15], 0 offen offset:1024// 0000000085CC: E05C1400 80833C28
	v_mfma_f32_16x16x128_f8f6f4 v[156:159], a[120:127], v[136:143], 0// 0000000085D4: D3AD009C 0A031178
	v_mul_f32_dpp v46, v20, v29 row_newbcast:2 row_mask:0xf bank_mask:0xf// 0000000085DC: 0A5C3AFA FF015214
	v_mov_b32_e32 v47, v46                                     // 0000000085E4: 7E5E032E
	v_pk_fma_f32 v[160:161], v[144:145], v[46:47], v[160:161]  // 0000000085E8: D3B040A0 1E825D90
	v_pk_fma_f32 v[162:163], v[146:147], v[46:47], v[162:163]  // 0000000085F0: D3B040A2 1E8A5D92
	v_pk_fma_f32 v[164:165], v[148:149], v[46:47], v[164:165]  // 0000000085F8: D3B040A4 1E925D94
	v_pk_fma_f32 v[166:167], v[150:151], v[46:47], v[166:167]  // 000000008600: D3B040A6 1E9A5D96
	v_mul_f32_dpp v46, v20, v29 row_newbcast:3 row_mask:0xf bank_mask:0xf// 000000008608: 0A5C3AFA FF015314
	v_mov_b32_e32 v47, v46                                     // 000000008610: 7E5E032E
	v_pk_fma_f32 v[168:169], v[152:153], v[46:47], v[168:169]  // 000000008614: D3B040A8 1EA25D98
	v_pk_fma_f32 v[170:171], v[154:155], v[46:47], v[170:171]  // 00000000861C: D3B040AA 1EAA5D9A
	v_pk_fma_f32 v[172:173], v[156:157], v[46:47], v[172:173]  // 000000008624: D3B040AC 1EB25D9C
	v_pk_fma_f32 v[174:175], v[158:159], v[46:47], v[174:175]  // 00000000862C: D3B040AE 1EBA5D9E
	s_add_u32 s60, 0x300, s80                                  // 000000008634: 803C50FF 00000300
	s_cmp_lt_u32 s60, s81                                      // 00000000863C: BF0A513C
	s_cselect_b32 s56, s56, 0                                  // 000000008640: 85388038
	s_cselect_b32 s78, s78, 0                                  // 000000008644: 854E804E
	s_cselect_b32 s79, s79, 0                                  // 000000008648: 854F804F
	s_add_u32 s12, s56, s12                                    // 00000000864C: 800C0C38
	s_addc_u32 s13, 0, s13                                     // 000000008650: 820D0D80
	s_add_u32 s16, s79, s16                                    // 000000008654: 8010104F
	s_addc_u32 s17, 0, s17                                     // 000000008658: 82111180
	v_mov_b32_e32 v46, v23                                     // 00000000865C: 7E5C0317
	v_mov_b32_e32 v47, v23                                     // 000000008660: 7E5E0317
	v_pk_mul_f32 v[160:161], v[46:47], v[160:161]              // 000000008664: D3B140A0 1803412E
	v_pk_mul_f32 v[162:163], v[46:47], v[162:163]              // 00000000866C: D3B140A2 1803452E
	v_pk_mul_f32 v[164:165], v[46:47], v[164:165]              // 000000008674: D3B140A4 1803492E
	v_pk_mul_f32 v[166:167], v[46:47], v[166:167]              // 00000000867C: D3B140A6 18034D2E
	v_pk_mul_f32 v[168:169], v[46:47], v[168:169]              // 000000008684: D3B140A8 1803512E
	v_pk_mul_f32 v[170:171], v[46:47], v[170:171]              // 00000000868C: D3B140AA 1803552E
	v_pk_mul_f32 v[172:173], v[46:47], v[172:173]              // 000000008694: D3B140AC 1803592E
	v_pk_mul_f32 v[174:175], v[46:47], v[174:175]              // 00000000869C: D3B140AE 18035D2E
	v_cvt_pk_bf16_f32 v160, v160, v161                         // 0000000086A4: D26800A0 000343A0
	v_cvt_pk_bf16_f32 v161, v162, v163                         // 0000000086AC: D26800A1 000347A2
	v_cvt_pk_bf16_f32 v162, v164, v165                         // 0000000086B4: D26800A2 00034BA4
	v_cvt_pk_bf16_f32 v163, v166, v167                         // 0000000086BC: D26800A3 00034FA6
	v_cvt_pk_bf16_f32 v164, v168, v169                         // 0000000086C4: D26800A4 000353A8
	v_cvt_pk_bf16_f32 v165, v170, v171                         // 0000000086CC: D26800A5 000357AA
	v_cvt_pk_bf16_f32 v166, v172, v173                         // 0000000086D4: D26800A6 00035BAC
	v_cvt_pk_bf16_f32 v167, v174, v175                         // 0000000086DC: D26800A7 00035FAE
	s_cmp_ge_u32 s80, 0x200                                    // 0000000086E4: BF09FF50 00000200
	s_cselect_b32 s59, 0x200, s59                              // 0000000086EC: 853B3BFF 00000200
	s_waitcnt lgkmcnt(0)                                       // 0000000086F4: BF8CC07F
	s_barrier                                                  // 0000000086F8: BF8A0000
	s_setvskip s20, 0                                          // 0000000086FC: BF108014
	global_atomic_pk_add_bf16 v80, v64, s[8:9]                 // 000000008700: DD488000 00084050
	s_setvskip 0, 0                                            // 000000008708: BF108080
	s_setvskip s20, 0                                          // 00000000870C: BF108014
	global_atomic_pk_add_bf16 v80, v65, s[8:9] offset:256      // 000000008710: DD488100 00084150
	s_setvskip 0, 0                                            // 000000008718: BF108080
	s_setvskip s20, 1                                          // 00000000871C: BF108114
	global_atomic_pk_add_bf16 v82, v66, s[8:9]                 // 000000008720: DD488000 00084252
	s_setvskip 0, 0                                            // 000000008728: BF108080
	s_setvskip s20, 1                                          // 00000000872C: BF108114
	global_atomic_pk_add_bf16 v82, v67, s[8:9] offset:256      // 000000008730: DD488100 00084352
	s_setvskip 0, 0                                            // 000000008738: BF108080
	s_setvskip s20, 2                                          // 00000000873C: BF108214
	global_atomic_pk_add_bf16 v84, v68, s[8:9]                 // 000000008740: DD488000 00084454
	s_setvskip 0, 0                                            // 000000008748: BF108080
	s_setvskip s20, 2                                          // 00000000874C: BF108214
	global_atomic_pk_add_bf16 v84, v69, s[8:9] offset:256      // 000000008750: DD488100 00084554
	s_setvskip 0, 0                                            // 000000008758: BF108080
	s_setvskip s20, 3                                          // 00000000875C: BF108314
	global_atomic_pk_add_bf16 v86, v70, s[8:9]                 // 000000008760: DD488000 00084656
	s_setvskip 0, 0                                            // 000000008768: BF108080
	s_setvskip s20, 3                                          // 00000000876C: BF108314
	global_atomic_pk_add_bf16 v86, v71, s[8:9] offset:256      // 000000008770: DD488100 00084756
	s_setvskip 0, 0                                            // 000000008778: BF108080
	s_add_u32 s8, s59, s8                                      // 00000000877C: 8008083B
	s_addc_u32 s9, 0, s9                                       // 000000008780: 82090980
	s_addk_i32 s80, 0x100                                      // 000000008784: B7500100
	s_cmp_lt_i32 s80, s81                                      // 000000008788: BF045150
	s_cbranch_scc0 label_0D35                                  // 00000000878C: BF84F6D1
	s_waitcnt vmcnt(29) lgkmcnt(0)                             // 000000008790: BF8C407D
	s_barrier                                                  // 000000008794: BF8A0000
	v_mfma_f32_16x16x128_f8f6f4 v[176:179], a[128:135], v[128:135], 0// 000000008798: D3AD00B0 0A030180
	buffer_load_dword v20, v6, s[16:19], 0 offen               // 0000000087A0: E0501000 80041406
	buffer_load_dwordx4 a[64:67], v37, s[12:15], 0 offen       // 0000000087A8: E05C1000 80834025
	buffer_load_dwordx4 a[68:71], v37, s[12:15], 0 offen offset:1024// 0000000087B0: E05C1400 80834425
	buffer_load_dwordx4 a[72:75], v38, s[12:15], 0 offen       // 0000000087B8: E05C1000 80834826
	buffer_load_dwordx4 a[76:79], v38, s[12:15], 0 offen offset:1024// 0000000087C0: E05C1400 80834C26
	v_mfma_f32_16x16x128_f8f6f4 v[180:183], a[136:143], v[128:135], 0// 0000000087C8: D3AD00B4 0A030188
	ds_read_b32 v64, v5 offset:29184                           // 0000000087D0: D86C7200 40000005
	ds_read_b32 v65, v5 offset:33536                           // 0000000087D8: D86C8300 41000005
	ds_read_b32 v66, v5 offset:29192                           // 0000000087E0: D86C7208 42000005
	ds_read_b32 v67, v5 offset:33544                           // 0000000087E8: D86C8308 43000005
	ds_read_b32 v68, v5 offset:29216                           // 0000000087F0: D86C7220 44000005
	ds_read_b32 v69, v5 offset:33568                           // 0000000087F8: D86C8320 45000005
	ds_read_b32 v70, v5 offset:29224                           // 000000008800: D86C7228 46000005
	ds_read_b32 v71, v5 offset:33576                           // 000000008808: D86C8328 47000005
	s_waitcnt vmcnt(29)                                        // 000000008810: BF8C4F7D
	v_mfma_f32_16x16x128_f8f6f4 v[184:187], a[144:151], v[128:135], 0// 000000008814: D3AD00B8 0A030190
	buffer_load_dwordx4 a[80:83], v39, s[12:15], 0 offen       // 00000000881C: E05C1000 80835027
	buffer_load_dwordx4 a[84:87], v39, s[12:15], 0 offen offset:1024// 000000008824: E05C1400 80835427
	buffer_load_dwordx4 a[88:91], v40, s[12:15], 0 offen       // 00000000882C: E05C1000 80835828
	buffer_load_dwordx4 a[92:95], v40, s[12:15], 0 offen offset:1024// 000000008834: E05C1400 80835C28
	s_add_u32 s12, s78, s12                                    // 00000000883C: 800C0C4E
	s_addc_u32 s13, 0, s13                                     // 000000008840: 820D0D80
	v_mfma_f32_16x16x128_f8f6f4 v[188:191], a[152:159], v[128:135], 0// 000000008844: D3AD00BC 0A030198
	v_mul_f32_dpp v46, v21, v28 row_newbcast:0 row_mask:0xf bank_mask:0xf// 00000000884C: 0A5C38FA FF015015
	v_mov_b32_e32 v47, v46                                     // 000000008854: 7E5E032E
	v_pk_mul_f32 v[176:177], v[46:47], v[176:177]              // 000000008858: D3B140B0 1803612E
	v_pk_mul_f32 v[178:179], v[46:47], v[178:179]              // 000000008860: D3B140B2 1803652E
	v_pk_mul_f32 v[180:181], v[46:47], v[180:181]              // 000000008868: D3B140B4 1803692E
	v_pk_mul_f32 v[182:183], v[46:47], v[182:183]              // 000000008870: D3B140B6 18036D2E
	v_mul_f32_dpp v46, v21, v28 row_newbcast:1 row_mask:0xf bank_mask:0xf// 000000008878: 0A5C38FA FF015115
	v_mov_b32_e32 v47, v46                                     // 000000008880: 7E5E032E
	v_pk_mul_f32 v[184:185], v[46:47], v[184:185]              // 000000008884: D3B140B8 1803712E
	v_pk_mul_f32 v[186:187], v[46:47], v[186:187]              // 00000000888C: D3B140BA 1803752E
	v_pk_mul_f32 v[188:189], v[46:47], v[188:189]              // 000000008894: D3B140BC 1803792E
	v_pk_mul_f32 v[190:191], v[46:47], v[190:191]              // 00000000889C: D3B140BE 18037D2E
	s_waitcnt vmcnt(29)                                        // 0000000088A4: BF8C4F7D
	v_mfma_f32_16x16x128_f8f6f4 v[144:147], a[160:167], v[136:143], 0// 0000000088A8: D3AD0090 0A0311A0
	buffer_load_dwordx4 a[96:99], v37, s[12:15], 0 offen       // 0000000088B0: E05C1000 80836025
	buffer_load_dwordx4 a[100:103], v37, s[12:15], 0 offen offset:1024// 0000000088B8: E05C1400 80836425
	buffer_load_dwordx4 a[104:107], v38, s[12:15], 0 offen     // 0000000088C0: E05C1000 80836826
	buffer_load_dwordx4 a[108:111], v38, s[12:15], 0 offen offset:1024// 0000000088C8: E05C1400 80836C26
	v_mfma_f32_16x16x128_f8f6f4 v[148:151], a[168:175], v[136:143], 0// 0000000088D0: D3AD0094 0A0311A8
	ds_write_b64 v4, v[160:161] offset:11776                   // 0000000088D8: D89A2E00 0000A004
	ds_write_b64 v4, v[162:163] offset:13952                   // 0000000088E0: D89A3680 0000A204
	ds_write_b64 v4, v[164:165] offset:16128                   // 0000000088E8: D89A3F00 0000A404
	ds_write_b64 v4, v[166:167] offset:18304                   // 0000000088F0: D89A4780 0000A604
	s_waitcnt vmcnt(29)                                        // 0000000088F8: BF8C4F7D
	v_mfma_f32_16x16x128_f8f6f4 v[152:155], a[176:183], v[136:143], 0// 0000000088FC: D3AD0098 0A0311B0
	buffer_load_dwordx4 a[112:115], v39, s[12:15], 0 offen     // 000000008904: E05C1000 80837027
	buffer_load_dwordx4 a[116:119], v39, s[12:15], 0 offen offset:1024// 00000000890C: E05C1400 80837427
	buffer_load_dwordx4 a[120:123], v40, s[12:15], 0 offen     // 000000008914: E05C1000 80837828
	buffer_load_dwordx4 a[124:127], v40, s[12:15], 0 offen offset:1024// 00000000891C: E05C1400 80837C28
	v_mfma_f32_16x16x128_f8f6f4 v[156:159], a[184:191], v[136:143], 0// 000000008924: D3AD009C 0A0311B8
	v_mul_f32_dpp v46, v21, v29 row_newbcast:2 row_mask:0xf bank_mask:0xf// 00000000892C: 0A5C3AFA FF015215
	v_mov_b32_e32 v47, v46                                     // 000000008934: 7E5E032E
	v_pk_fma_f32 v[176:177], v[144:145], v[46:47], v[176:177]  // 000000008938: D3B040B0 1EC25D90
	v_pk_fma_f32 v[178:179], v[146:147], v[46:47], v[178:179]  // 000000008940: D3B040B2 1ECA5D92
	v_pk_fma_f32 v[180:181], v[148:149], v[46:47], v[180:181]  // 000000008948: D3B040B4 1ED25D94
	v_pk_fma_f32 v[182:183], v[150:151], v[46:47], v[182:183]  // 000000008950: D3B040B6 1EDA5D96
	v_mul_f32_dpp v46, v21, v29 row_newbcast:3 row_mask:0xf bank_mask:0xf// 000000008958: 0A5C3AFA FF015315
	v_mov_b32_e32 v47, v46                                     // 000000008960: 7E5E032E
	v_pk_fma_f32 v[184:185], v[152:153], v[46:47], v[184:185]  // 000000008964: D3B040B8 1EE25D98
	v_pk_fma_f32 v[186:187], v[154:155], v[46:47], v[186:187]  // 00000000896C: D3B040BA 1EEA5D9A
	v_pk_fma_f32 v[188:189], v[156:157], v[46:47], v[188:189]  // 000000008974: D3B040BC 1EF25D9C
	v_pk_fma_f32 v[190:191], v[158:159], v[46:47], v[190:191]  // 00000000897C: D3B040BE 1EFA5D9E
	s_add_u32 s60, 0x300, s80                                  // 000000008984: 803C50FF 00000300
	s_cmp_lt_u32 s60, s81                                      // 00000000898C: BF0A513C
	s_cselect_b32 s56, s56, 0                                  // 000000008990: 85388038
	s_cselect_b32 s78, s78, 0                                  // 000000008994: 854E804E
	s_cselect_b32 s79, s79, 0                                  // 000000008998: 854F804F
	s_add_u32 s12, s56, s12                                    // 00000000899C: 800C0C38
	s_addc_u32 s13, 0, s13                                     // 0000000089A0: 820D0D80
	s_add_u32 s16, s79, s16                                    // 0000000089A4: 8010104F
	s_addc_u32 s17, 0, s17                                     // 0000000089A8: 82111180
	v_mov_b32_e32 v46, v23                                     // 0000000089AC: 7E5C0317
	v_mov_b32_e32 v47, v23                                     // 0000000089B0: 7E5E0317
	v_pk_mul_f32 v[176:177], v[46:47], v[176:177]              // 0000000089B4: D3B140B0 1803612E
	v_pk_mul_f32 v[178:179], v[46:47], v[178:179]              // 0000000089BC: D3B140B2 1803652E
	v_pk_mul_f32 v[180:181], v[46:47], v[180:181]              // 0000000089C4: D3B140B4 1803692E
	v_pk_mul_f32 v[182:183], v[46:47], v[182:183]              // 0000000089CC: D3B140B6 18036D2E
	v_pk_mul_f32 v[184:185], v[46:47], v[184:185]              // 0000000089D4: D3B140B8 1803712E
	v_pk_mul_f32 v[186:187], v[46:47], v[186:187]              // 0000000089DC: D3B140BA 1803752E
	v_pk_mul_f32 v[188:189], v[46:47], v[188:189]              // 0000000089E4: D3B140BC 1803792E
	v_pk_mul_f32 v[190:191], v[46:47], v[190:191]              // 0000000089EC: D3B140BE 18037D2E
	v_cvt_pk_bf16_f32 v176, v176, v177                         // 0000000089F4: D26800B0 000363B0
	v_cvt_pk_bf16_f32 v177, v178, v179                         // 0000000089FC: D26800B1 000367B2
	v_cvt_pk_bf16_f32 v178, v180, v181                         // 000000008A04: D26800B2 00036BB4
	v_cvt_pk_bf16_f32 v179, v182, v183                         // 000000008A0C: D26800B3 00036FB6
	v_cvt_pk_bf16_f32 v180, v184, v185                         // 000000008A14: D26800B4 000373B8
	v_cvt_pk_bf16_f32 v181, v186, v187                         // 000000008A1C: D26800B5 000377BA
	v_cvt_pk_bf16_f32 v182, v188, v189                         // 000000008A24: D26800B6 00037BBC
	v_cvt_pk_bf16_f32 v183, v190, v191                         // 000000008A2C: D26800B7 00037FBE
	s_cmp_ge_u32 s80, 0x200                                    // 000000008A34: BF09FF50 00000200
	s_cselect_b32 s59, 0x200, s59                              // 000000008A3C: 853B3BFF 00000200
	s_waitcnt lgkmcnt(0)                                       // 000000008A44: BF8CC07F
	s_barrier                                                  // 000000008A48: BF8A0000
	s_setvskip s20, 0                                          // 000000008A4C: BF108014
	global_atomic_pk_add_bf16 v80, v64, s[8:9]                 // 000000008A50: DD488000 00084050
	s_setvskip 0, 0                                            // 000000008A58: BF108080
	s_setvskip s20, 0                                          // 000000008A5C: BF108014
	global_atomic_pk_add_bf16 v80, v65, s[8:9] offset:256      // 000000008A60: DD488100 00084150
	s_setvskip 0, 0                                            // 000000008A68: BF108080
	s_setvskip s20, 1                                          // 000000008A6C: BF108114
	global_atomic_pk_add_bf16 v82, v66, s[8:9]                 // 000000008A70: DD488000 00084252
	s_setvskip 0, 0                                            // 000000008A78: BF108080
	s_setvskip s20, 1                                          // 000000008A7C: BF108114
	global_atomic_pk_add_bf16 v82, v67, s[8:9] offset:256      // 000000008A80: DD488100 00084352
	s_setvskip 0, 0                                            // 000000008A88: BF108080
	s_setvskip s20, 2                                          // 000000008A8C: BF108214
	global_atomic_pk_add_bf16 v84, v68, s[8:9]                 // 000000008A90: DD488000 00084454
	s_setvskip 0, 0                                            // 000000008A98: BF108080
	s_setvskip s20, 2                                          // 000000008A9C: BF108214
	global_atomic_pk_add_bf16 v84, v69, s[8:9] offset:256      // 000000008AA0: DD488100 00084554
	s_setvskip 0, 0                                            // 000000008AA8: BF108080
	s_setvskip s20, 3                                          // 000000008AAC: BF108314
	global_atomic_pk_add_bf16 v86, v70, s[8:9]                 // 000000008AB0: DD488000 00084656
	s_setvskip 0, 0                                            // 000000008AB8: BF108080
	s_setvskip s20, 3                                          // 000000008ABC: BF108314
	global_atomic_pk_add_bf16 v86, v71, s[8:9] offset:256      // 000000008AC0: DD488100 00084756
	s_setvskip 0, 0                                            // 000000008AC8: BF108080
	s_add_u32 s8, s59, s8                                      // 000000008ACC: 8008083B
	s_addc_u32 s9, 0, s9                                       // 000000008AD0: 82090980
	s_addk_i32 s80, 0x100                                      // 000000008AD4: B7500100
	s_cmp_lt_i32 s80, s81                                      // 000000008AD8: BF045150
	s_cbranch_scc0 label_0D35                                  // 000000008ADC: BF84F5FD
	s_branch label_1240                                        // 000000008AE0: BF82FB07

0000000000008ae4 <label_1739>:
	s_cmp_ge_u32 s59, 0                                        // 000000008AE4: BF09803B
	s_cselect_b32 s59, 0x200, s59                              // 000000008AE8: 853B3BFF 00000200
	s_waitcnt lgkmcnt(0)                                       // 000000008AF0: BF8CC07F
	s_barrier                                                  // 000000008AF4: BF8A0000
	s_cmp_eq_u32 s64, 0x100                                    // 000000008AF8: BF06FF40 00000100
	s_cbranch_scc0 label_177D                                  // 000000008B00: BF84003C
	ds_write_b64 v4, v[160:161] offset:11776                   // 000000008B04: D89A2E00 0000A004
	ds_write_b64 v4, v[162:163] offset:13952                   // 000000008B0C: D89A3680 0000A204
	ds_write_b64 v4, v[164:165] offset:16128                   // 000000008B14: D89A3F00 0000A404
	ds_write_b64 v4, v[166:167] offset:18304                   // 000000008B1C: D89A4780 0000A604
	s_waitcnt lgkmcnt(0)                                       // 000000008B24: BF8CC07F
	s_barrier                                                  // 000000008B28: BF8A0000
	ds_read_b32 v64, v5 offset:11776                           // 000000008B2C: D86C2E00 40000005
	ds_read_b32 v65, v5 offset:16128                           // 000000008B34: D86C3F00 41000005
	ds_read_b32 v66, v5 offset:11784                           // 000000008B3C: D86C2E08 42000005
	ds_read_b32 v67, v5 offset:16136                           // 000000008B44: D86C3F08 43000005
	ds_read_b32 v68, v5 offset:11808                           // 000000008B4C: D86C2E20 44000005
	ds_read_b32 v69, v5 offset:16160                           // 000000008B54: D86C3F20 45000005
	ds_read_b32 v70, v5 offset:11816                           // 000000008B5C: D86C2E28 46000005
	ds_read_b32 v71, v5 offset:16168                           // 000000008B64: D86C3F28 47000005
	s_waitcnt lgkmcnt(0)                                       // 000000008B6C: BF8CC07F
	s_setvskip s20, 0                                          // 000000008B70: BF108014
	global_atomic_pk_add_bf16 v80, v64, s[8:9]                 // 000000008B74: DD488000 00084050
	s_setvskip 0, 0                                            // 000000008B7C: BF108080
	s_setvskip s20, 0                                          // 000000008B80: BF108014
	global_atomic_pk_add_bf16 v80, v65, s[8:9] offset:256      // 000000008B84: DD488100 00084150
	s_setvskip 0, 0                                            // 000000008B8C: BF108080
	s_setvskip s20, 1                                          // 000000008B90: BF108114
	global_atomic_pk_add_bf16 v82, v66, s[8:9]                 // 000000008B94: DD488000 00084252
	s_setvskip 0, 0                                            // 000000008B9C: BF108080
	s_setvskip s20, 1                                          // 000000008BA0: BF108114
	global_atomic_pk_add_bf16 v82, v67, s[8:9] offset:256      // 000000008BA4: DD488100 00084352
	s_setvskip 0, 0                                            // 000000008BAC: BF108080
	s_setvskip s20, 2                                          // 000000008BB0: BF108214
	global_atomic_pk_add_bf16 v84, v68, s[8:9]                 // 000000008BB4: DD488000 00084454
	s_setvskip 0, 0                                            // 000000008BBC: BF108080
	s_setvskip s20, 2                                          // 000000008BC0: BF108214
	global_atomic_pk_add_bf16 v84, v69, s[8:9] offset:256      // 000000008BC4: DD488100 00084554
	s_setvskip 0, 0                                            // 000000008BCC: BF108080
	s_setvskip s20, 3                                          // 000000008BD0: BF108314
	global_atomic_pk_add_bf16 v86, v70, s[8:9]                 // 000000008BD4: DD488000 00084656
	s_setvskip 0, 0                                            // 000000008BDC: BF108080
	s_setvskip s20, 3                                          // 000000008BE0: BF108314
	global_atomic_pk_add_bf16 v86, v71, s[8:9] offset:256      // 000000008BE4: DD488100 00084756
	s_setvskip 0, 0                                            // 000000008BEC: BF108080
	s_branch label_17EB                                        // 000000008BF0: BF82006E

0000000000008bf4 <label_177D>:
	ds_read_b32 v64, v5 offset:11776                           // 000000008BF4: D86C2E00 40000005
	ds_read_b32 v65, v5 offset:16128                           // 000000008BFC: D86C3F00 41000005
	ds_read_b32 v66, v5 offset:11784                           // 000000008C04: D86C2E08 42000005
	ds_read_b32 v67, v5 offset:16136                           // 000000008C0C: D86C3F08 43000005
	ds_read_b32 v68, v5 offset:11808                           // 000000008C14: D86C2E20 44000005
	ds_read_b32 v69, v5 offset:16160                           // 000000008C1C: D86C3F20 45000005
	ds_read_b32 v70, v5 offset:11816                           // 000000008C24: D86C2E28 46000005
	ds_read_b32 v71, v5 offset:16168                           // 000000008C2C: D86C3F28 47000005
	s_waitcnt lgkmcnt(0)                                       // 000000008C34: BF8CC07F
	s_setvskip s20, 0                                          // 000000008C38: BF108014
	global_atomic_pk_add_bf16 v80, v64, s[8:9]                 // 000000008C3C: DD488000 00084050
	s_setvskip 0, 0                                            // 000000008C44: BF108080
	s_setvskip s20, 0                                          // 000000008C48: BF108014
	global_atomic_pk_add_bf16 v80, v65, s[8:9] offset:256      // 000000008C4C: DD488100 00084150
	s_setvskip 0, 0                                            // 000000008C54: BF108080
	s_setvskip s20, 1                                          // 000000008C58: BF108114
	global_atomic_pk_add_bf16 v82, v66, s[8:9]                 // 000000008C5C: DD488000 00084252
	s_setvskip 0, 0                                            // 000000008C64: BF108080
	s_setvskip s20, 1                                          // 000000008C68: BF108114
	global_atomic_pk_add_bf16 v82, v67, s[8:9] offset:256      // 000000008C6C: DD488100 00084352
	s_setvskip 0, 0                                            // 000000008C74: BF108080
	s_setvskip s20, 2                                          // 000000008C78: BF108214
	global_atomic_pk_add_bf16 v84, v68, s[8:9]                 // 000000008C7C: DD488000 00084454
	s_setvskip 0, 0                                            // 000000008C84: BF108080
	s_setvskip s20, 2                                          // 000000008C88: BF108214
	global_atomic_pk_add_bf16 v84, v69, s[8:9] offset:256      // 000000008C8C: DD488100 00084554
	s_setvskip 0, 0                                            // 000000008C94: BF108080
	s_setvskip s20, 3                                          // 000000008C98: BF108314
	global_atomic_pk_add_bf16 v86, v70, s[8:9]                 // 000000008C9C: DD488000 00084656
	s_setvskip 0, 0                                            // 000000008CA4: BF108080
	s_setvskip s20, 3                                          // 000000008CA8: BF108314
	global_atomic_pk_add_bf16 v86, v71, s[8:9] offset:256      // 000000008CAC: DD488100 00084756
	s_setvskip 0, 0                                            // 000000008CB4: BF108080
	s_add_u32 s8, s59, s8                                      // 000000008CB8: 8008083B
	s_addc_u32 s9, 0, s9                                       // 000000008CBC: 82090980
	ds_write_b64 v4, v[176:177] offset:29184                   // 000000008CC0: D89A7200 0000B004
	ds_write_b64 v4, v[178:179] offset:31360                   // 000000008CC8: D89A7A80 0000B204
	ds_write_b64 v4, v[180:181] offset:33536                   // 000000008CD0: D89A8300 0000B404
	ds_write_b64 v4, v[182:183] offset:35712                   // 000000008CD8: D89A8B80 0000B604
	s_waitcnt lgkmcnt(0)                                       // 000000008CE0: BF8CC07F
	s_barrier                                                  // 000000008CE4: BF8A0000
	ds_read_b32 v64, v5 offset:29184                           // 000000008CE8: D86C7200 40000005
	ds_read_b32 v65, v5 offset:33536                           // 000000008CF0: D86C8300 41000005
	ds_read_b32 v66, v5 offset:29192                           // 000000008CF8: D86C7208 42000005
	ds_read_b32 v67, v5 offset:33544                           // 000000008D00: D86C8308 43000005
	ds_read_b32 v68, v5 offset:29216                           // 000000008D08: D86C7220 44000005
	ds_read_b32 v69, v5 offset:33568                           // 000000008D10: D86C8320 45000005
	ds_read_b32 v70, v5 offset:29224                           // 000000008D18: D86C7228 46000005
	ds_read_b32 v71, v5 offset:33576                           // 000000008D20: D86C8328 47000005
	s_waitcnt lgkmcnt(0)                                       // 000000008D28: BF8CC07F
	s_setvskip s20, 0                                          // 000000008D2C: BF108014
	global_atomic_pk_add_bf16 v80, v64, s[8:9]                 // 000000008D30: DD488000 00084050
	s_setvskip 0, 0                                            // 000000008D38: BF108080
	s_setvskip s20, 0                                          // 000000008D3C: BF108014
	global_atomic_pk_add_bf16 v80, v65, s[8:9] offset:256      // 000000008D40: DD488100 00084150
	s_setvskip 0, 0                                            // 000000008D48: BF108080
	s_setvskip s20, 1                                          // 000000008D4C: BF108114
	global_atomic_pk_add_bf16 v82, v66, s[8:9]                 // 000000008D50: DD488000 00084252
	s_setvskip 0, 0                                            // 000000008D58: BF108080
	s_setvskip s20, 1                                          // 000000008D5C: BF108114
	global_atomic_pk_add_bf16 v82, v67, s[8:9] offset:256      // 000000008D60: DD488100 00084352
	s_setvskip 0, 0                                            // 000000008D68: BF108080
	s_setvskip s20, 2                                          // 000000008D6C: BF108214
	global_atomic_pk_add_bf16 v84, v68, s[8:9]                 // 000000008D70: DD488000 00084454
	s_setvskip 0, 0                                            // 000000008D78: BF108080
	s_setvskip s20, 2                                          // 000000008D7C: BF108214
	global_atomic_pk_add_bf16 v84, v69, s[8:9] offset:256      // 000000008D80: DD488100 00084554
	s_setvskip 0, 0                                            // 000000008D88: BF108080
	s_setvskip s20, 3                                          // 000000008D8C: BF108314
	global_atomic_pk_add_bf16 v86, v70, s[8:9]                 // 000000008D90: DD488000 00084656
	s_setvskip 0, 0                                            // 000000008D98: BF108080
	s_setvskip s20, 3                                          // 000000008D9C: BF108314
	global_atomic_pk_add_bf16 v86, v71, s[8:9] offset:256      // 000000008DA0: DD488100 00084756
	s_setvskip 0, 0                                            // 000000008DA8: BF108080

0000000000008dac <label_17EB>:
	s_waitcnt vmcnt(0) expcnt(0) lgkmcnt(0)                    // 000000008DAC: BF8C0000
	s_endpgm                                                   // 000000008DB0: BF810000
